;; amdgpu-corpus repo=ROCm/rocFFT kind=compiled arch=gfx1201 opt=O3
	.text
	.amdgcn_target "amdgcn-amd-amdhsa--gfx1201"
	.amdhsa_code_object_version 6
	.protected	bluestein_single_back_len1331_dim1_dp_op_CI_CI ; -- Begin function bluestein_single_back_len1331_dim1_dp_op_CI_CI
	.globl	bluestein_single_back_len1331_dim1_dp_op_CI_CI
	.p2align	8
	.type	bluestein_single_back_len1331_dim1_dp_op_CI_CI,@function
bluestein_single_back_len1331_dim1_dp_op_CI_CI: ; @bluestein_single_back_len1331_dim1_dp_op_CI_CI
; %bb.0:
	s_load_b128 s[16:19], s[0:1], 0x28
	v_mul_u32_u24_e32 v1, 0x21e, v0
	v_mov_b32_e32 v3, 0
	s_mov_b32 s2, exec_lo
	s_delay_alu instid0(VALU_DEP_2) | instskip(NEXT) | instid1(VALU_DEP_1)
	v_lshrrev_b32_e32 v44, 16, v1
	v_lshl_add_u32 v2, ttmp9, 1, v44
	s_wait_kmcnt 0x0
	s_delay_alu instid0(VALU_DEP_1)
	v_cmpx_gt_u64_e64 s[16:17], v[2:3]
	s_cbranch_execz .LBB0_2
; %bb.1:
	s_clause 0x1
	s_load_b128 s[4:7], s[0:1], 0x18
	s_load_b128 s[8:11], s[0:1], 0x0
	v_mul_lo_u16 v1, 0x79, v44
	s_mov_b32 s22, 0xf8bb580b
	s_mov_b32 s28, 0x8eee2c13
	;; [unrolled: 1-line block ×4, first 2 shown]
	v_sub_nc_u16 v58, v0, v1
	s_mov_b32 s24, 0xfd768dbf
	s_mov_b32 s23, 0xbfe14ced
	;; [unrolled: 1-line block ×3, first 2 shown]
	s_delay_alu instid0(VALU_DEP_1)
	v_dual_mov_b32 v4, v2 :: v_dual_and_b32 v185, 0xffff, v58
	s_mov_b32 s27, 0xbfefac9e
	s_mov_b32 s21, 0xbfe82f19
	;; [unrolled: 1-line block ×3, first 2 shown]
	scratch_store_b64 off, v[4:5], off      ; 8-byte Folded Spill
	v_lshlrev_b32_e32 v255, 4, v185
	s_mov_b32 s16, 0xd9c712b6
	s_mov_b32 s17, 0x3fda9628
	s_wait_kmcnt 0x0
	s_load_b128 s[12:15], s[4:5], 0x0
	s_mov_b32 s31, 0x3fd207e7
	s_mov_b32 s30, s24
	;; [unrolled: 1-line block ×8, first 2 shown]
	s_load_b64 s[0:1], s[0:1], 0x38
	s_wait_kmcnt 0x0
	v_mad_co_u64_u32 v[0:1], null, s14, v2, 0
	v_mad_co_u64_u32 v[2:3], null, s12, v185, 0
	s_mul_u64 s[2:3], s[12:13], 0x790
	s_delay_alu instid0(VALU_DEP_1) | instskip(SKIP_2) | instid1(VALU_DEP_1)
	v_mad_co_u64_u32 v[4:5], null, s15, v4, v[1:2]
	s_mov_b32 s14, 0x640f44db
	s_mov_b32 s15, 0xbfc2375f
	v_mad_co_u64_u32 v[5:6], null, s13, v185, v[3:4]
	v_mov_b32_e32 v1, v4
	s_mov_b32 s12, 0x7f775887
	s_mov_b32 s13, 0xbfe4f49e
	s_delay_alu instid0(VALU_DEP_1) | instskip(NEXT) | instid1(VALU_DEP_3)
	v_lshlrev_b64_e32 v[0:1], 4, v[0:1]
	v_mov_b32_e32 v3, v5
	s_delay_alu instid0(VALU_DEP_2) | instskip(NEXT) | instid1(VALU_DEP_2)
	v_add_co_u32 v0, vcc_lo, s18, v0
	v_lshlrev_b64_e32 v[2:3], 4, v[2:3]
	s_delay_alu instid0(VALU_DEP_4) | instskip(SKIP_2) | instid1(VALU_DEP_2)
	v_add_co_ci_u32_e32 v1, vcc_lo, s19, v1, vcc_lo
	s_mov_b32 s18, 0x8764f0ba
	s_mov_b32 s19, 0x3feaeb8c
	v_add_co_u32 v0, vcc_lo, v0, v2
	s_wait_alu 0xfffd
	v_add_co_ci_u32_e32 v1, vcc_lo, v1, v3, vcc_lo
	s_delay_alu instid0(VALU_DEP_2) | instskip(SKIP_1) | instid1(VALU_DEP_2)
	v_add_co_u32 v8, vcc_lo, v0, s2
	s_wait_alu 0xfffd
	v_add_co_ci_u32_e32 v9, vcc_lo, s3, v1, vcc_lo
	global_load_b128 v[12:15], v[0:1], off
	s_clause 0x1
	global_load_b128 v[0:3], v255, s[8:9]
	global_load_b128 v[4:7], v255, s[8:9] offset:1936
	global_load_b128 v[16:19], v[8:9], off
	v_add_co_u32 v24, vcc_lo, v8, s2
	s_wait_alu 0xfffd
	v_add_co_ci_u32_e32 v25, vcc_lo, s3, v9, vcc_lo
	global_load_b128 v[20:23], v[24:25], off
	global_load_b128 v[8:11], v255, s[8:9] offset:3872
	v_add_co_u32 v24, vcc_lo, v24, s2
	s_wait_alu 0xfffd
	v_add_co_ci_u32_e32 v25, vcc_lo, s3, v25, vcc_lo
	s_wait_loadcnt 0x4
	v_mul_f64_e32 v[26:27], v[14:15], v[2:3]
	v_mul_f64_e32 v[28:29], v[12:13], v[2:3]
	s_wait_loadcnt 0x2
	v_mul_f64_e32 v[30:31], v[18:19], v[6:7]
	v_mul_f64_e32 v[32:33], v[16:17], v[6:7]
	s_clause 0x1
	scratch_store_b128 off, v[0:3], off offset:8
	scratch_store_b128 off, v[4:7], off offset:40
	s_wait_loadcnt 0x0
	scratch_store_b128 off, v[8:11], off offset:24 ; 16-byte Folded Spill
	v_fma_f64 v[45:46], v[12:13], v[0:1], v[26:27]
	v_fma_f64 v[47:48], v[14:15], v[0:1], -v[28:29]
	v_fma_f64 v[49:50], v[16:17], v[4:5], v[30:31]
	v_mul_f64_e32 v[16:17], v[20:21], v[10:11]
	global_load_b128 v[0:3], v255, s[8:9] offset:5808
	v_fma_f64 v[51:52], v[18:19], v[4:5], -v[32:33]
	global_load_b128 v[4:7], v255, s[8:9] offset:9680
	v_mul_f64_e32 v[26:27], v[22:23], v[10:11]
	v_add_co_u32 v28, vcc_lo, v24, s2
	s_wait_alu 0xfffd
	v_add_co_ci_u32_e32 v29, vcc_lo, s3, v25, vcc_lo
	v_fma_f64 v[55:56], v[22:23], v[8:9], -v[16:17]
	global_load_b128 v[16:19], v[24:25], off
	v_fma_f64 v[53:54], v[20:21], v[8:9], v[26:27]
	global_load_b128 v[24:27], v[28:29], off
	v_add_co_u32 v28, vcc_lo, v28, s2
	s_wait_alu 0xfffd
	v_add_co_ci_u32_e32 v29, vcc_lo, s3, v29, vcc_lo
	s_delay_alu instid0(VALU_DEP_2) | instskip(SKIP_1) | instid1(VALU_DEP_2)
	v_add_co_u32 v36, vcc_lo, v28, s2
	s_wait_alu 0xfffd
	v_add_co_ci_u32_e32 v37, vcc_lo, s3, v29, vcc_lo
	s_wait_loadcnt 0x3
	scratch_store_b128 off, v[0:3], off offset:56 ; 16-byte Folded Spill
	s_wait_loadcnt 0x2
	scratch_store_b128 off, v[4:7], off offset:88 ; 16-byte Folded Spill
	s_wait_loadcnt 0x1
	v_mul_f64_e32 v[20:21], v[18:19], v[2:3]
	v_mul_f64_e32 v[22:23], v[16:17], v[2:3]
	s_delay_alu instid0(VALU_DEP_2) | instskip(NEXT) | instid1(VALU_DEP_2)
	v_fma_f64 v[59:60], v[16:17], v[0:1], v[20:21]
	v_fma_f64 v[61:62], v[18:19], v[0:1], -v[22:23]
	global_load_b128 v[0:3], v255, s[8:9] offset:7744
	s_wait_loadcnt 0x0
	v_mul_f64_e32 v[30:31], v[26:27], v[2:3]
	v_mul_f64_e32 v[32:33], v[24:25], v[2:3]
	scratch_store_b128 off, v[0:3], off offset:72 ; 16-byte Folded Spill
	v_fma_f64 v[63:64], v[24:25], v[0:1], v[30:31]
	v_fma_f64 v[65:66], v[26:27], v[0:1], -v[32:33]
	global_load_b128 v[24:27], v[28:29], off
	s_wait_loadcnt 0x0
	v_mul_f64_e32 v[32:33], v[24:25], v[6:7]
	v_mul_f64_e32 v[30:31], v[26:27], v[6:7]
	s_delay_alu instid0(VALU_DEP_2)
	v_fma_f64 v[69:70], v[26:27], v[4:5], -v[32:33]
	global_load_b128 v[32:35], v[36:37], off
	global_load_b128 v[0:3], v255, s[8:9] offset:11616
	v_add_co_u32 v36, vcc_lo, v36, s2
	s_wait_alu 0xfffd
	v_add_co_ci_u32_e32 v37, vcc_lo, s3, v37, vcc_lo
	v_fma_f64 v[67:68], v[24:25], v[4:5], v[30:31]
	global_load_b128 v[4:7], v255, s[8:9] offset:13552
	v_add_co_u32 v83, vcc_lo, v36, s2
	s_wait_alu 0xfffd
	v_add_co_ci_u32_e32 v84, vcc_lo, s3, v37, vcc_lo
	s_delay_alu instid0(VALU_DEP_2) | instskip(SKIP_1) | instid1(VALU_DEP_2)
	v_add_co_u32 v87, vcc_lo, v83, s2
	s_wait_alu 0xfffd
	v_add_co_ci_u32_e32 v88, vcc_lo, s3, v84, vcc_lo
	s_wait_loadcnt 0x1
	v_mul_f64_e32 v[38:39], v[34:35], v[2:3]
	v_mul_f64_e32 v[40:41], v[32:33], v[2:3]
	scratch_store_b128 off, v[0:3], off offset:104 ; 16-byte Folded Spill
	s_wait_loadcnt 0x0
	scratch_store_b128 off, v[4:7], off offset:120 ; 16-byte Folded Spill
	v_fma_f64 v[71:72], v[32:33], v[0:1], v[38:39]
	v_fma_f64 v[73:74], v[34:35], v[0:1], -v[40:41]
	global_load_b128 v[32:35], v[36:37], off
	s_wait_loadcnt 0x0
	v_mul_f64_e32 v[40:41], v[32:33], v[6:7]
	v_mul_f64_e32 v[38:39], v[34:35], v[6:7]
	s_delay_alu instid0(VALU_DEP_2)
	v_fma_f64 v[77:78], v[34:35], v[4:5], -v[40:41]
	global_load_b128 v[40:43], v[83:84], off
	global_load_b128 v[0:3], v255, s[8:9] offset:15488
	v_fma_f64 v[75:76], v[32:33], v[4:5], v[38:39]
	global_load_b128 v[4:7], v255, s[8:9] offset:17424
	s_wait_loadcnt 0x1
	v_mul_f64_e32 v[79:80], v[42:43], v[2:3]
	v_mul_f64_e32 v[81:82], v[40:41], v[2:3]
	scratch_store_b128 off, v[0:3], off offset:136 ; 16-byte Folded Spill
	s_wait_loadcnt 0x0
	scratch_store_b128 off, v[4:7], off offset:152 ; 16-byte Folded Spill
	v_fma_f64 v[79:80], v[40:41], v[0:1], v[79:80]
	v_fma_f64 v[81:82], v[42:43], v[0:1], -v[81:82]
	global_load_b128 v[40:43], v[87:88], off
	s_wait_loadcnt 0x0
	v_mul_f64_e32 v[83:84], v[42:43], v[6:7]
	v_mul_f64_e32 v[85:86], v[40:41], v[6:7]
	s_delay_alu instid0(VALU_DEP_2)
	v_fma_f64 v[83:84], v[40:41], v[4:5], v[83:84]
	v_add_co_u32 v40, vcc_lo, v87, s2
	s_wait_alu 0xfffd
	v_add_co_ci_u32_e32 v41, vcc_lo, s3, v88, vcc_lo
	global_load_b128 v[87:90], v[40:41], off
	global_load_b128 v[0:3], v255, s[8:9] offset:19360
	v_fma_f64 v[85:86], v[42:43], v[4:5], -v[85:86]
	s_mov_b32 s2, 0x9bcd5057
	s_mov_b32 s3, 0xbfeeb42a
	s_wait_loadcnt 0x0
	v_mul_f64_e32 v[91:92], v[89:90], v[2:3]
	v_mul_f64_e32 v[93:94], v[87:88], v[2:3]
	scratch_store_b128 off, v[0:3], off offset:168 ; 16-byte Folded Spill
	v_fma_f64 v[87:88], v[87:88], v[0:1], v[91:92]
	v_fma_f64 v[89:90], v[89:90], v[0:1], -v[93:94]
	v_and_b32_e32 v0, 1, v44
	s_delay_alu instid0(VALU_DEP_1) | instskip(SKIP_3) | instid1(VALU_DEP_2)
	v_cmp_eq_u32_e32 vcc_lo, 1, v0
	v_mul_lo_u16 v0, v58, 11
	s_wait_alu 0xfffd
	v_cndmask_b32_e64 v15, 0, 0x5330, vcc_lo
	v_and_b32_e32 v0, 0xffff, v0
	s_delay_alu instid0(VALU_DEP_2)
	v_add_nc_u32_e32 v186, v15, v255
	ds_store_b128 v186, v[45:48]
	ds_store_b128 v186, v[49:52] offset:1936
	ds_store_b128 v186, v[53:56] offset:3872
	;; [unrolled: 1-line block ×10, first 2 shown]
	s_load_b128 s[4:7], s[6:7], 0x0
	global_wb scope:SCOPE_SE
	s_wait_storecnt_dscnt 0x0
	s_wait_kmcnt 0x0
	s_barrier_signal -1
	s_barrier_wait -1
	global_inv scope:SCOPE_SE
	ds_load_b128 v[44:47], v186
	ds_load_b128 v[48:51], v186 offset:1936
	ds_load_b128 v[52:55], v186 offset:3872
	;; [unrolled: 1-line block ×3, first 2 shown]
	s_wait_dscnt 0x2
	v_add_f64_e32 v[56:57], v[44:45], v[48:49]
	v_add_f64_e32 v[63:64], v[46:47], v[50:51]
	s_wait_dscnt 0x1
	s_delay_alu instid0(VALU_DEP_2) | instskip(NEXT) | instid1(VALU_DEP_2)
	v_add_f64_e32 v[56:57], v[56:57], v[52:53]
	v_add_f64_e32 v[63:64], v[63:64], v[54:55]
	s_wait_dscnt 0x0
	s_delay_alu instid0(VALU_DEP_2) | instskip(NEXT) | instid1(VALU_DEP_2)
	v_add_f64_e32 v[56:57], v[56:57], v[59:60]
	v_add_f64_e32 v[71:72], v[63:64], v[61:62]
	ds_load_b128 v[63:66], v186 offset:7744
	ds_load_b128 v[67:70], v186 offset:9680
	s_wait_dscnt 0x1
	v_add_f64_e32 v[56:57], v[56:57], v[63:64]
	v_add_f64_e32 v[71:72], v[71:72], v[65:66]
	s_wait_dscnt 0x0
	s_delay_alu instid0(VALU_DEP_2) | instskip(NEXT) | instid1(VALU_DEP_2)
	v_add_f64_e32 v[56:57], v[56:57], v[67:68]
	v_add_f64_e32 v[79:80], v[71:72], v[69:70]
	ds_load_b128 v[71:74], v186 offset:11616
	ds_load_b128 v[75:78], v186 offset:13552
	s_wait_dscnt 0x1
	v_add_f64_e32 v[87:88], v[67:68], v[71:72]
	v_add_f64_e64 v[81:82], v[67:68], -v[71:72]
	v_add_f64_e32 v[89:90], v[69:70], v[73:74]
	v_add_f64_e64 v[83:84], v[69:70], -v[73:74]
	s_wait_dscnt 0x0
	v_add_f64_e32 v[91:92], v[63:64], v[75:76]
	v_add_f64_e32 v[93:94], v[65:66], v[77:78]
	;; [unrolled: 1-line block ×4, first 2 shown]
	v_add_f64_e64 v[73:74], v[63:64], -v[75:76]
	v_add_f64_e64 v[71:72], v[65:66], -v[77:78]
	v_mul_f64_e32 v[151:152], s[24:25], v[81:82]
	v_mul_f64_e32 v[167:168], s[36:37], v[81:82]
	;; [unrolled: 1-line block ×10, first 2 shown]
	v_add_f64_e32 v[56:57], v[56:57], v[75:76]
	v_add_f64_e32 v[75:76], v[67:68], v[77:78]
	ds_load_b128 v[63:66], v186 offset:15488
	ds_load_b128 v[67:70], v186 offset:17424
	v_mul_f64_e32 v[145:146], s[20:21], v[71:72]
	v_mul_f64_e32 v[147:148], s[20:21], v[73:74]
	;; [unrolled: 1-line block ×10, first 2 shown]
	s_wait_dscnt 0x1
	v_add_f64_e64 v[79:80], v[59:60], -v[63:64]
	v_add_f64_e32 v[95:96], v[59:60], v[63:64]
	s_wait_dscnt 0x0
	v_add_f64_e64 v[85:86], v[52:53], -v[67:68]
	v_add_f64_e32 v[99:100], v[52:53], v[67:68]
	v_add_f64_e32 v[101:102], v[54:55], v[69:70]
	v_add_f64_e64 v[77:78], v[61:62], -v[65:66]
	v_add_f64_e32 v[97:98], v[61:62], v[65:66]
	v_add_f64_e32 v[56:57], v[56:57], v[63:64]
	;; [unrolled: 1-line block ×3, first 2 shown]
	v_add_f64_e64 v[75:76], v[54:55], -v[69:70]
	ds_load_b128 v[52:55], v186 offset:19360
	global_wb scope:SCOPE_SE
	s_wait_dscnt 0x0
	s_barrier_signal -1
	s_barrier_wait -1
	global_inv scope:SCOPE_SE
	v_mul_f64_e32 v[143:144], s[26:27], v[79:80]
	v_mul_f64_e32 v[159:160], s[30:31], v[79:80]
	v_add_f64_e64 v[61:62], v[50:51], -v[54:55]
	v_add_f64_e64 v[63:64], v[48:49], -v[52:53]
	v_add_f64_e32 v[65:66], v[48:49], v[52:53]
	v_mul_f64_e32 v[139:140], s[28:29], v[85:86]
	v_mul_f64_e32 v[141:142], s[26:27], v[77:78]
	;; [unrolled: 1-line block ×7, first 2 shown]
	v_add_f64_e32 v[56:57], v[56:57], v[67:68]
	v_add_f64_e32 v[59:60], v[59:60], v[69:70]
	;; [unrolled: 1-line block ×3, first 2 shown]
	v_mul_f64_e32 v[137:138], s[28:29], v[75:76]
	v_mul_f64_e32 v[153:154], s[20:21], v[75:76]
	;; [unrolled: 1-line block ×8, first 2 shown]
	v_add_f64_e32 v[48:49], v[56:57], v[52:53]
	v_add_f64_e32 v[50:51], v[59:60], v[54:55]
	v_mul_f64_e32 v[52:53], s[22:23], v[61:62]
	v_mul_f64_e32 v[54:55], s[28:29], v[61:62]
	;; [unrolled: 1-line block ×5, first 2 shown]
	v_fma_f64 v[119:120], v[67:68], s[16:17], v[111:112]
	v_fma_f64 v[121:122], v[67:68], s[14:15], v[113:114]
	;; [unrolled: 1-line block ×3, first 2 shown]
	v_fma_f64 v[111:112], v[67:68], s[16:17], -v[111:112]
	v_fma_f64 v[113:114], v[67:68], s[14:15], -v[113:114]
	v_fma_f64 v[115:116], v[67:68], s[12:13], -v[115:116]
	v_fma_f64 v[69:70], v[65:66], s[18:19], -v[52:53]
	v_fma_f64 v[52:53], v[65:66], s[18:19], v[52:53]
	v_fma_f64 v[103:104], v[65:66], s[16:17], -v[54:55]
	v_fma_f64 v[54:55], v[65:66], s[16:17], v[54:55]
	v_fma_f64 v[105:106], v[65:66], s[14:15], -v[56:57]
	;; [unrolled: 2-line block ×4, first 2 shown]
	v_fma_f64 v[61:62], v[65:66], s[2:3], v[61:62]
	v_mul_f64_e32 v[65:66], s[22:23], v[63:64]
	v_mul_f64_e32 v[63:64], s[24:25], v[63:64]
	v_add_f64_e32 v[111:112], v[46:47], v[111:112]
	v_add_f64_e32 v[113:114], v[46:47], v[113:114]
	;; [unrolled: 1-line block ×13, first 2 shown]
	v_fma_f64 v[117:118], v[67:68], s[18:19], -v[65:66]
	v_fma_f64 v[65:66], v[67:68], s[18:19], v[65:66]
	v_fma_f64 v[127:128], v[67:68], s[2:3], v[63:64]
	v_fma_f64 v[63:64], v[67:68], s[2:3], -v[63:64]
	v_add_f64_e32 v[133:134], v[44:45], v[61:62]
	v_fma_f64 v[59:60], v[95:96], s[2:3], -v[157:158]
	v_add_f64_e32 v[67:68], v[46:47], v[117:118]
	v_add_f64_e32 v[117:118], v[46:47], v[65:66]
	;; [unrolled: 1-line block ×4, first 2 shown]
	v_fma_f64 v[44:45], v[99:100], s[16:17], v[137:138]
	v_add_f64_e32 v[127:128], v[46:47], v[127:128]
	v_add_f64_e32 v[135:136], v[46:47], v[63:64]
	v_fma_f64 v[46:47], v[101:102], s[16:17], -v[139:140]
	v_fma_f64 v[54:55], v[101:102], s[12:13], v[155:156]
	v_add_f64_e32 v[44:45], v[44:45], v[52:53]
	v_fma_f64 v[52:53], v[95:96], s[14:15], v[141:142]
	s_delay_alu instid0(VALU_DEP_4) | instskip(NEXT) | instid1(VALU_DEP_4)
	v_add_f64_e32 v[46:47], v[46:47], v[67:68]
	v_add_f64_e32 v[54:55], v[54:55], v[69:70]
	s_delay_alu instid0(VALU_DEP_3) | instskip(SKIP_1) | instid1(VALU_DEP_1)
	v_add_f64_e32 v[44:45], v[52:53], v[44:45]
	v_fma_f64 v[52:53], v[97:98], s[14:15], -v[143:144]
	v_add_f64_e32 v[46:47], v[52:53], v[46:47]
	v_fma_f64 v[52:53], v[91:92], s[12:13], v[145:146]
	s_delay_alu instid0(VALU_DEP_1) | instskip(SKIP_1) | instid1(VALU_DEP_1)
	v_add_f64_e32 v[44:45], v[52:53], v[44:45]
	v_fma_f64 v[52:53], v[93:94], s[12:13], -v[147:148]
	v_add_f64_e32 v[46:47], v[52:53], v[46:47]
	v_fma_f64 v[52:53], v[87:88], s[2:3], v[149:150]
	s_delay_alu instid0(VALU_DEP_1) | instskip(SKIP_1) | instid1(VALU_DEP_1)
	v_add_f64_e32 v[44:45], v[52:53], v[44:45]
	v_fma_f64 v[52:53], v[89:90], s[2:3], -v[151:152]
	v_add_f64_e32 v[46:47], v[52:53], v[46:47]
	v_fma_f64 v[52:53], v[99:100], s[12:13], -v[153:154]
	s_delay_alu instid0(VALU_DEP_1) | instskip(NEXT) | instid1(VALU_DEP_1)
	v_add_f64_e32 v[52:53], v[52:53], v[65:66]
	v_add_f64_e32 v[52:53], v[59:60], v[52:53]
	v_fma_f64 v[59:60], v[97:98], s[2:3], v[159:160]
	s_delay_alu instid0(VALU_DEP_1) | instskip(SKIP_1) | instid1(VALU_DEP_1)
	v_add_f64_e32 v[54:55], v[59:60], v[54:55]
	v_fma_f64 v[59:60], v[91:92], s[14:15], -v[161:162]
	v_add_f64_e32 v[52:53], v[59:60], v[52:53]
	v_fma_f64 v[59:60], v[93:94], s[14:15], v[163:164]
	s_delay_alu instid0(VALU_DEP_1) | instskip(SKIP_1) | instid1(VALU_DEP_1)
	v_add_f64_e32 v[54:55], v[59:60], v[54:55]
	v_fma_f64 v[59:60], v[87:88], s[18:19], -v[165:166]
	;; [unrolled: 5-line block ×3, first 2 shown]
	v_add_f64_e32 v[59:60], v[59:60], v[105:106]
	v_mul_f64_e32 v[105:106], s[30:31], v[85:86]
	s_delay_alu instid0(VALU_DEP_1) | instskip(NEXT) | instid1(VALU_DEP_1)
	v_fma_f64 v[61:62], v[101:102], s[2:3], v[105:106]
	v_add_f64_e32 v[61:62], v[61:62], v[119:120]
	v_mul_f64_e32 v[119:120], s[38:39], v[77:78]
	s_delay_alu instid0(VALU_DEP_1) | instskip(NEXT) | instid1(VALU_DEP_1)
	v_fma_f64 v[63:64], v[95:96], s[16:17], -v[119:120]
	v_add_f64_e32 v[59:60], v[63:64], v[59:60]
	v_fma_f64 v[63:64], v[97:98], s[16:17], v[171:172]
	s_delay_alu instid0(VALU_DEP_1) | instskip(SKIP_1) | instid1(VALU_DEP_1)
	v_add_f64_e32 v[61:62], v[63:64], v[61:62]
	v_fma_f64 v[63:64], v[91:92], s[18:19], -v[173:174]
	v_add_f64_e32 v[59:60], v[63:64], v[59:60]
	v_fma_f64 v[63:64], v[93:94], s[18:19], v[175:176]
	s_delay_alu instid0(VALU_DEP_1) | instskip(SKIP_1) | instid1(VALU_DEP_1)
	v_add_f64_e32 v[61:62], v[63:64], v[61:62]
	;; [unrolled: 5-line block ×3, first 2 shown]
	v_fma_f64 v[63:64], v[99:100], s[14:15], -v[181:182]
	v_add_f64_e32 v[63:64], v[63:64], v[107:108]
	v_mul_f64_e32 v[107:108], s[34:35], v[85:86]
	v_mul_f64_e32 v[85:86], s[36:37], v[85:86]
	s_delay_alu instid0(VALU_DEP_2) | instskip(NEXT) | instid1(VALU_DEP_2)
	v_fma_f64 v[65:66], v[101:102], s[14:15], v[107:108]
	v_fma_f64 v[69:70], v[101:102], s[18:19], v[85:86]
	v_fma_f64 v[85:86], v[101:102], s[18:19], -v[85:86]
	s_delay_alu instid0(VALU_DEP_3) | instskip(SKIP_4) | instid1(VALU_DEP_4)
	v_add_f64_e32 v[65:66], v[65:66], v[121:122]
	v_mul_f64_e32 v[121:122], s[22:23], v[77:78]
	v_mul_f64_e32 v[77:78], s[20:21], v[77:78]
	v_add_f64_e32 v[69:70], v[69:70], v[127:128]
	v_add_f64_e32 v[85:86], v[85:86], v[135:136]
	v_fma_f64 v[67:68], v[95:96], s[18:19], -v[121:122]
	s_delay_alu instid0(VALU_DEP_1) | instskip(SKIP_1) | instid1(VALU_DEP_1)
	v_add_f64_e32 v[63:64], v[67:68], v[63:64]
	v_fma_f64 v[67:68], v[97:98], s[18:19], v[183:184]
	v_add_f64_e32 v[65:66], v[67:68], v[65:66]
	v_fma_f64 v[67:68], v[91:92], s[2:3], -v[188:189]
	s_delay_alu instid0(VALU_DEP_1) | instskip(SKIP_1) | instid1(VALU_DEP_1)
	v_add_f64_e32 v[63:64], v[67:68], v[63:64]
	v_fma_f64 v[67:68], v[93:94], s[2:3], v[190:191]
	;; [unrolled: 5-line block ×3, first 2 shown]
	v_add_f64_e32 v[65:66], v[67:68], v[65:66]
	v_fma_f64 v[67:68], v[99:100], s[18:19], -v[75:76]
	v_fma_f64 v[75:76], v[99:100], s[18:19], v[75:76]
	s_delay_alu instid0(VALU_DEP_2) | instskip(SKIP_1) | instid1(VALU_DEP_3)
	v_add_f64_e32 v[67:68], v[67:68], v[109:110]
	v_fma_f64 v[109:110], v[95:96], s[12:13], -v[77:78]
	v_add_f64_e32 v[75:76], v[75:76], v[133:134]
	v_fma_f64 v[77:78], v[95:96], s[12:13], v[77:78]
	s_delay_alu instid0(VALU_DEP_3) | instskip(SKIP_1) | instid1(VALU_DEP_3)
	v_add_f64_e32 v[67:68], v[109:110], v[67:68]
	v_fma_f64 v[109:110], v[97:98], s[12:13], v[79:80]
	v_add_f64_e32 v[75:76], v[77:78], v[75:76]
	v_fma_f64 v[77:78], v[97:98], s[12:13], -v[79:80]
	v_fma_f64 v[79:80], v[95:96], s[18:19], v[121:122]
	s_delay_alu instid0(VALU_DEP_4) | instskip(SKIP_4) | instid1(VALU_DEP_4)
	v_add_f64_e32 v[69:70], v[109:110], v[69:70]
	v_fma_f64 v[109:110], v[91:92], s[16:17], -v[71:72]
	v_fma_f64 v[71:72], v[91:92], s[16:17], v[71:72]
	v_add_f64_e32 v[77:78], v[77:78], v[85:86]
	v_fma_f64 v[85:86], v[95:96], s[2:3], v[157:158]
	v_add_f64_e32 v[67:68], v[109:110], v[67:68]
	;; [unrolled: 2-line block ×3, first 2 shown]
	v_fma_f64 v[73:74], v[93:94], s[16:17], -v[73:74]
	v_fma_f64 v[75:76], v[87:88], s[14:15], v[83:84]
	s_delay_alu instid0(VALU_DEP_4) | instskip(SKIP_1) | instid1(VALU_DEP_4)
	v_add_f64_e32 v[69:70], v[109:110], v[69:70]
	v_fma_f64 v[109:110], v[87:88], s[14:15], -v[83:84]
	v_add_f64_e32 v[73:74], v[73:74], v[77:78]
	v_fma_f64 v[77:78], v[89:90], s[14:15], -v[81:82]
	v_add_f64_e32 v[71:72], v[75:76], v[71:72]
	v_fma_f64 v[75:76], v[99:100], s[14:15], v[181:182]
	v_fma_f64 v[83:84], v[89:90], s[12:13], -v[179:180]
	v_add_f64_e32 v[67:68], v[109:110], v[67:68]
	v_fma_f64 v[109:110], v[89:90], s[14:15], v[81:82]
	v_add_f64_e32 v[73:74], v[77:78], v[73:74]
	v_fma_f64 v[77:78], v[101:102], s[14:15], -v[107:108]
	v_add_f64_e32 v[75:76], v[75:76], v[125:126]
	v_fma_f64 v[81:82], v[89:90], s[16:17], -v[194:195]
	v_add_f64_e32 v[69:70], v[109:110], v[69:70]
	s_delay_alu instid0(VALU_DEP_4) | instskip(NEXT) | instid1(VALU_DEP_4)
	v_add_f64_e32 v[77:78], v[77:78], v[115:116]
	v_add_f64_e32 v[75:76], v[79:80], v[75:76]
	v_fma_f64 v[79:80], v[97:98], s[18:19], -v[183:184]
	s_delay_alu instid0(VALU_DEP_1) | instskip(SKIP_1) | instid1(VALU_DEP_1)
	v_add_f64_e32 v[77:78], v[79:80], v[77:78]
	v_fma_f64 v[79:80], v[91:92], s[2:3], v[188:189]
	v_add_f64_e32 v[75:76], v[79:80], v[75:76]
	v_fma_f64 v[79:80], v[93:94], s[2:3], -v[190:191]
	s_delay_alu instid0(VALU_DEP_1) | instskip(SKIP_1) | instid1(VALU_DEP_2)
	v_add_f64_e32 v[77:78], v[79:80], v[77:78]
	v_fma_f64 v[79:80], v[87:88], s[16:17], v[192:193]
	v_add_f64_e32 v[77:78], v[81:82], v[77:78]
	s_delay_alu instid0(VALU_DEP_2) | instskip(SKIP_3) | instid1(VALU_DEP_3)
	v_add_f64_e32 v[75:76], v[79:80], v[75:76]
	v_fma_f64 v[79:80], v[99:100], s[2:3], v[169:170]
	v_fma_f64 v[81:82], v[95:96], s[16:17], v[119:120]
	v_fma_f64 v[95:96], v[95:96], s[14:15], -v[141:142]
	v_add_f64_e32 v[56:57], v[79:80], v[56:57]
	v_fma_f64 v[79:80], v[101:102], s[2:3], -v[105:106]
	s_delay_alu instid0(VALU_DEP_2) | instskip(NEXT) | instid1(VALU_DEP_2)
	v_add_f64_e32 v[56:57], v[81:82], v[56:57]
	v_add_f64_e32 v[79:80], v[79:80], v[113:114]
	v_fma_f64 v[81:82], v[97:98], s[16:17], -v[171:172]
	s_delay_alu instid0(VALU_DEP_1) | instskip(SKIP_1) | instid1(VALU_DEP_1)
	v_add_f64_e32 v[79:80], v[81:82], v[79:80]
	v_fma_f64 v[81:82], v[91:92], s[18:19], v[173:174]
	v_add_f64_e32 v[56:57], v[81:82], v[56:57]
	v_fma_f64 v[81:82], v[93:94], s[18:19], -v[175:176]
	s_delay_alu instid0(VALU_DEP_1) | instskip(SKIP_1) | instid1(VALU_DEP_2)
	v_add_f64_e32 v[81:82], v[81:82], v[79:80]
	v_fma_f64 v[79:80], v[87:88], s[12:13], v[177:178]
	v_add_f64_e32 v[81:82], v[83:84], v[81:82]
	s_delay_alu instid0(VALU_DEP_2) | instskip(SKIP_2) | instid1(VALU_DEP_2)
	v_add_f64_e32 v[79:80], v[79:80], v[56:57]
	v_fma_f64 v[56:57], v[99:100], s[12:13], v[153:154]
	v_fma_f64 v[83:84], v[101:102], s[12:13], -v[155:156]
	v_add_f64_e32 v[56:57], v[56:57], v[103:104]
	s_delay_alu instid0(VALU_DEP_2) | instskip(SKIP_2) | instid1(VALU_DEP_4)
	v_add_f64_e32 v[83:84], v[83:84], v[111:112]
	v_fma_f64 v[103:104], v[89:90], s[18:19], -v[167:168]
	v_fma_f64 v[89:90], v[89:90], s[2:3], v[151:152]
	v_add_f64_e32 v[56:57], v[85:86], v[56:57]
	v_fma_f64 v[85:86], v[97:98], s[2:3], -v[159:160]
	v_fma_f64 v[97:98], v[97:98], s[14:15], v[143:144]
	s_delay_alu instid0(VALU_DEP_2) | instskip(SKIP_2) | instid1(VALU_DEP_2)
	v_add_f64_e32 v[83:84], v[85:86], v[83:84]
	v_fma_f64 v[85:86], v[91:92], s[14:15], v[161:162]
	v_fma_f64 v[91:92], v[91:92], s[12:13], -v[145:146]
	v_add_f64_e32 v[56:57], v[85:86], v[56:57]
	v_fma_f64 v[85:86], v[93:94], s[14:15], -v[163:164]
	v_fma_f64 v[93:94], v[93:94], s[12:13], v[147:148]
	s_delay_alu instid0(VALU_DEP_2) | instskip(SKIP_2) | instid1(VALU_DEP_3)
	v_add_f64_e32 v[85:86], v[85:86], v[83:84]
	v_fma_f64 v[83:84], v[87:88], s[18:19], v[165:166]
	v_fma_f64 v[87:88], v[87:88], s[2:3], -v[149:150]
	v_add_f64_e32 v[85:86], v[103:104], v[85:86]
	s_delay_alu instid0(VALU_DEP_3) | instskip(SKIP_2) | instid1(VALU_DEP_2)
	v_add_f64_e32 v[83:84], v[83:84], v[56:57]
	v_fma_f64 v[56:57], v[99:100], s[16:17], -v[137:138]
	v_fma_f64 v[99:100], v[101:102], s[16:17], v[139:140]
	v_add_f64_e32 v[56:57], v[56:57], v[129:130]
	s_delay_alu instid0(VALU_DEP_2) | instskip(NEXT) | instid1(VALU_DEP_2)
	v_add_f64_e32 v[99:100], v[99:100], v[117:118]
	v_add_f64_e32 v[56:57], v[95:96], v[56:57]
	s_delay_alu instid0(VALU_DEP_2) | instskip(NEXT) | instid1(VALU_DEP_2)
	v_add_f64_e32 v[95:96], v[97:98], v[99:100]
	;; [unrolled: 3-line block ×3, first 2 shown]
	v_add_f64_e32 v[87:88], v[87:88], v[56:57]
	v_lshl_add_u32 v56, v0, 4, v15
	v_and_b32_e32 v0, 0xff, v58
	s_delay_alu instid0(VALU_DEP_4)
	v_add_f64_e32 v[89:90], v[89:90], v[91:92]
	ds_store_b128 v56, v[52:55] offset:32
	ds_store_b128 v56, v[59:62] offset:48
	;; [unrolled: 1-line block ×10, first 2 shown]
	ds_store_b128 v56, v[48:51]
	v_mul_lo_u16 v0, 0x75, v0
	global_wb scope:SCOPE_SE
	s_wait_dscnt 0x0
	s_barrier_signal -1
	s_barrier_wait -1
	global_inv scope:SCOPE_SE
	v_lshrrev_b16 v0, 8, v0
	ds_load_b128 v[44:47], v186 offset:1936
	ds_load_b128 v[127:130], v186
	v_sub_nc_u16 v1, v58, v0
	s_delay_alu instid0(VALU_DEP_1) | instskip(NEXT) | instid1(VALU_DEP_1)
	v_lshrrev_b16 v1, 1, v1
	v_and_b32_e32 v1, 0x7f, v1
	s_delay_alu instid0(VALU_DEP_1) | instskip(NEXT) | instid1(VALU_DEP_1)
	v_add_nc_u16 v0, v1, v0
	v_lshrrev_b16 v16, 3, v0
	s_delay_alu instid0(VALU_DEP_1) | instskip(NEXT) | instid1(VALU_DEP_1)
	v_mul_lo_u16 v0, v16, 11
	v_sub_nc_u16 v0, v58, v0
	s_delay_alu instid0(VALU_DEP_1) | instskip(NEXT) | instid1(VALU_DEP_1)
	v_and_b32_e32 v126, 0xff, v0
	v_mul_u32_u24_e32 v0, 10, v126
	s_delay_alu instid0(VALU_DEP_1)
	v_lshlrev_b32_e32 v76, 4, v0
	s_clause 0x3
	global_load_b128 v[48:51], v76, s[10:11]
	global_load_b128 v[0:3], v76, s[10:11] offset:16
	global_load_b128 v[104:107], v76, s[10:11] offset:144
	global_load_b128 v[96:99], v76, s[10:11] offset:128
	s_wait_loadcnt_dscnt 0x301
	v_mul_f64_e32 v[52:53], v[46:47], v[50:51]
	s_delay_alu instid0(VALU_DEP_1)
	v_fma_f64 v[90:91], v[44:45], v[48:49], -v[52:53]
	v_mul_f64_e32 v[44:45], v[44:45], v[50:51]
	ds_load_b128 v[52:55], v186 offset:19360
	v_fma_f64 v[133:134], v[46:47], v[48:49], v[44:45]
	s_wait_loadcnt_dscnt 0x100
	v_mul_f64_e32 v[44:45], v[52:53], v[106:107]
	v_mul_f64_e32 v[46:47], v[54:55], v[106:107]
	s_delay_alu instid0(VALU_DEP_2) | instskip(NEXT) | instid1(VALU_DEP_2)
	v_fma_f64 v[44:45], v[54:55], v[104:105], v[44:45]
	v_fma_f64 v[46:47], v[52:53], v[104:105], -v[46:47]
	ds_load_b128 v[52:55], v186 offset:3872
	ds_load_b128 v[64:67], v186 offset:5808
	scratch_store_b128 off, v[0:3], off offset:200 ; 16-byte Folded Spill
	ds_load_b128 v[68:71], v186 offset:17424
	ds_load_b128 v[72:75], v186 offset:15488
	s_clause 0x3
	global_load_b128 v[112:115], v76, s[10:11] offset:32
	global_load_b128 v[100:103], v76, s[10:11] offset:48
	;; [unrolled: 1-line block ×4, first 2 shown]
	ds_load_b128 v[77:80], v186 offset:7744
	ds_load_b128 v[81:84], v186 offset:9680
	s_clause 0x1
	global_load_b128 v[120:123], v76, s[10:11] offset:64
	global_load_b128 v[108:111], v76, s[10:11] offset:80
	s_wait_dscnt 0x5
	v_mul_f64_e32 v[60:61], v[54:55], v[2:3]
	v_add_f64_e32 v[163:164], v[133:134], v[44:45]
	v_add_f64_e32 v[143:144], v[90:91], v[46:47]
	s_delay_alu instid0(VALU_DEP_3) | instskip(SKIP_1) | instid1(VALU_DEP_1)
	v_fma_f64 v[60:61], v[52:53], v[0:1], -v[60:61]
	v_mul_f64_e32 v[52:53], v[52:53], v[2:3]
	v_fma_f64 v[62:63], v[54:55], v[0:1], v[52:53]
	s_wait_loadcnt_dscnt 0x603
	v_mul_f64_e32 v[54:55], v[70:71], v[98:99]
	v_mul_f64_e32 v[52:53], v[68:69], v[98:99]
	s_delay_alu instid0(VALU_DEP_2) | instskip(NEXT) | instid1(VALU_DEP_2)
	v_fma_f64 v[54:55], v[68:69], v[96:97], -v[54:55]
	v_fma_f64 v[52:53], v[70:71], v[96:97], v[52:53]
	s_delay_alu instid0(VALU_DEP_2) | instskip(NEXT) | instid1(VALU_DEP_2)
	v_add_f64_e32 v[181:182], v[60:61], v[54:55]
	v_add_f64_e64 v[179:180], v[62:63], -v[52:53]
	v_add_f64_e64 v[189:190], v[60:61], -v[54:55]
	v_add_f64_e32 v[191:192], v[62:63], v[52:53]
	s_delay_alu instid0(VALU_DEP_3) | instskip(NEXT) | instid1(VALU_DEP_3)
	v_mul_f64_e32 v[183:184], s[28:29], v[179:180]
	v_mul_f64_e32 v[193:194], s[28:29], v[189:190]
	;; [unrolled: 1-line block ×7, first 2 shown]
	s_delay_alu instid0(VALU_DEP_1) | instskip(SKIP_2) | instid1(VALU_DEP_1)
	v_fma_f64 v[9:10], v[191:192], s[14:15], v[187:188]
	s_wait_loadcnt 0x5
	v_mul_f64_e32 v[68:69], v[66:67], v[114:115]
	v_fma_f64 v[68:69], v[64:65], v[112:113], -v[68:69]
	v_mul_f64_e32 v[64:65], v[64:65], v[114:115]
	s_delay_alu instid0(VALU_DEP_1) | instskip(SKIP_3) | instid1(VALU_DEP_2)
	v_fma_f64 v[70:71], v[66:67], v[112:113], v[64:65]
	s_wait_loadcnt_dscnt 0x302
	v_mul_f64_e32 v[64:65], v[72:73], v[118:119]
	v_mul_f64_e32 v[66:67], v[74:75], v[118:119]
	v_fma_f64 v[64:65], v[74:75], v[116:117], v[64:65]
	s_delay_alu instid0(VALU_DEP_2) | instskip(SKIP_3) | instid1(VALU_DEP_4)
	v_fma_f64 v[66:67], v[72:73], v[116:117], -v[66:67]
	s_wait_dscnt 0x1
	v_mul_f64_e32 v[72:73], v[79:80], v[102:103]
	v_mul_f64_e32 v[74:75], v[77:78], v[102:103]
	v_add_f64_e64 v[195:196], v[70:71], -v[64:65]
	s_delay_alu instid0(VALU_DEP_4) | instskip(NEXT) | instid1(VALU_DEP_4)
	v_add_f64_e32 v[197:198], v[68:69], v[66:67]
	v_fma_f64 v[72:73], v[77:78], v[100:101], -v[72:73]
	s_delay_alu instid0(VALU_DEP_4)
	v_fma_f64 v[74:75], v[79:80], v[100:101], v[74:75]
	s_wait_loadcnt_dscnt 0x100
	v_mul_f64_e32 v[76:77], v[83:84], v[122:123]
	v_mul_f64_e32 v[78:79], v[81:82], v[122:123]
	v_add_f64_e64 v[201:202], v[68:69], -v[66:67]
	v_add_f64_e32 v[203:204], v[70:71], v[64:65]
	v_mul_f64_e32 v[199:200], s[26:27], v[195:196]
	v_mul_f64_e32 v[235:236], s[30:31], v[195:196]
	;; [unrolled: 1-line block ×3, first 2 shown]
	v_fma_f64 v[76:77], v[81:82], v[120:121], -v[76:77]
	v_fma_f64 v[78:79], v[83:84], v[120:121], v[78:79]
	ds_load_b128 v[82:85], v186 offset:11616
	ds_load_b128 v[86:89], v186 offset:13552
	v_mul_f64_e32 v[205:206], s[26:27], v[201:202]
	v_mul_f64_e32 v[237:238], s[30:31], v[201:202]
	v_mul_f64_e32 v[253:254], s[38:39], v[201:202]
	v_mul_f64_e32 v[7:8], s[22:23], v[201:202]
	global_wb scope:SCOPE_SE
	s_wait_storecnt 0x0
	s_wait_loadcnt_dscnt 0x0
	s_barrier_signal -1
	s_barrier_wait -1
	global_inv scope:SCOPE_SE
	v_mul_f64_e32 v[80:81], v[84:85], v[110:111]
	v_fma_f64 v[13:14], v[203:204], s[18:19], v[7:8]
	v_fma_f64 v[7:8], v[203:204], s[18:19], -v[7:8]
	s_delay_alu instid0(VALU_DEP_3) | instskip(SKIP_1) | instid1(VALU_DEP_2)
	v_fma_f64 v[80:81], v[82:83], v[108:109], -v[80:81]
	v_mul_f64_e32 v[82:83], v[82:83], v[110:111]
	v_add_f64_e32 v[221:222], v[76:77], v[80:81]
	s_delay_alu instid0(VALU_DEP_2) | instskip(SKIP_2) | instid1(VALU_DEP_3)
	v_fma_f64 v[82:83], v[84:85], v[108:109], v[82:83]
	v_mul_f64_e32 v[84:85], v[88:89], v[94:95]
	v_add_f64_e64 v[225:226], v[76:77], -v[80:81]
	v_add_f64_e64 v[219:220], v[78:79], -v[82:83]
	s_delay_alu instid0(VALU_DEP_3)
	v_fma_f64 v[84:85], v[86:87], v[92:93], -v[84:85]
	v_mul_f64_e32 v[86:87], v[86:87], v[94:95]
	v_add_f64_e32 v[227:228], v[78:79], v[82:83]
	v_mul_f64_e32 v[229:230], s[24:25], v[225:226]
	v_mul_f64_e32 v[245:246], s[36:37], v[225:226]
	;; [unrolled: 1-line block ×4, first 2 shown]
	v_add_f64_e32 v[209:210], v[72:73], v[84:85]
	v_fma_f64 v[86:87], v[88:89], v[92:93], v[86:87]
	v_add_f64_e64 v[88:89], v[133:134], -v[44:45]
	v_add_f64_e64 v[213:214], v[72:73], -v[84:85]
	v_mul_f64_e32 v[243:244], s[36:37], v[219:220]
	v_mul_f64_e32 v[124:125], s[20:21], v[219:220]
	v_fma_f64 v[17:18], v[227:228], s[16:17], v[0:1]
	v_fma_f64 v[0:1], v[227:228], s[16:17], -v[0:1]
	v_add_f64_e64 v[207:208], v[74:75], -v[86:87]
	v_mul_f64_e32 v[135:136], s[22:23], v[88:89]
	v_mul_f64_e32 v[137:138], s[28:29], v[88:89]
	;; [unrolled: 1-line block ×5, first 2 shown]
	v_add_f64_e32 v[215:216], v[74:75], v[86:87]
	v_mul_f64_e32 v[217:218], s[20:21], v[213:214]
	v_mul_f64_e32 v[241:242], s[34:35], v[213:214]
	;; [unrolled: 1-line block ×3, first 2 shown]
	v_fma_f64 v[5:6], v[221:222], s[12:13], -v[124:125]
	v_mul_f64_e32 v[211:212], s[20:21], v[207:208]
	v_fma_f64 v[145:146], v[143:144], s[18:19], -v[135:136]
	v_fma_f64 v[135:136], v[143:144], s[18:19], v[135:136]
	v_fma_f64 v[147:148], v[143:144], s[16:17], -v[137:138]
	v_fma_f64 v[137:138], v[143:144], s[16:17], v[137:138]
	;; [unrolled: 2-line block ×5, first 2 shown]
	v_add_f64_e64 v[88:89], v[90:91], -v[46:47]
	v_mul_f64_e32 v[239:240], s[34:35], v[207:208]
	v_mul_f64_e32 v[131:132], s[22:23], v[207:208]
	v_fma_f64 v[2:3], v[215:216], s[18:19], v[11:12]
	v_add_f64_e32 v[175:176], v[127:128], v[145:146]
	v_add_f64_e32 v[145:146], v[127:128], v[147:148]
	;; [unrolled: 1-line block ×4, first 2 shown]
	v_mul_f64_e32 v[155:156], s[22:23], v[88:89]
	v_mul_f64_e32 v[157:158], s[28:29], v[88:89]
	;; [unrolled: 1-line block ×5, first 2 shown]
	v_fma_f64 v[165:166], v[163:164], s[18:19], v[155:156]
	v_fma_f64 v[155:156], v[163:164], s[18:19], -v[155:156]
	v_fma_f64 v[167:168], v[163:164], s[16:17], v[157:158]
	v_fma_f64 v[157:158], v[163:164], s[16:17], -v[157:158]
	v_fma_f64 v[169:170], v[163:164], s[14:15], v[159:160]
	v_fma_f64 v[171:172], v[163:164], s[12:13], v[161:162]
	;; [unrolled: 1-line block ×3, first 2 shown]
	v_fma_f64 v[159:160], v[163:164], s[14:15], -v[159:160]
	v_fma_f64 v[161:162], v[163:164], s[12:13], -v[161:162]
	;; [unrolled: 1-line block ×3, first 2 shown]
	v_add_f64_e32 v[88:89], v[127:128], v[90:91]
	v_add_f64_e32 v[90:91], v[129:130], v[133:134]
	;; [unrolled: 1-line block ×15, first 2 shown]
	v_fma_f64 v[127:128], v[181:182], s[16:17], v[183:184]
	v_add_f64_e32 v[159:160], v[129:130], v[159:160]
	v_add_f64_e32 v[161:162], v[129:130], v[161:162]
	v_add_f64_e32 v[163:164], v[129:130], v[163:164]
	v_fma_f64 v[129:130], v[191:192], s[16:17], -v[193:194]
	v_fma_f64 v[139:140], v[197:198], s[2:3], -v[235:236]
	;; [unrolled: 1-line block ×3, first 2 shown]
	v_add_f64_e32 v[9:10], v[9:10], v[155:156]
	v_mul_f64_e32 v[155:156], s[22:23], v[195:196]
	v_add_f64_e32 v[127:128], v[127:128], v[133:134]
	v_fma_f64 v[133:134], v[197:198], s[14:15], v[199:200]
	v_add_f64_e32 v[129:130], v[129:130], v[135:136]
	v_fma_f64 v[135:136], v[191:192], s[12:13], v[233:234]
	v_add_f64_e32 v[9:10], v[13:14], v[9:10]
	v_fma_f64 v[143:144], v[197:198], s[18:19], -v[155:156]
	v_mul_f64_e32 v[13:14], s[24:25], v[207:208]
	v_add_f64_e32 v[127:128], v[133:134], v[127:128]
	v_fma_f64 v[133:134], v[203:204], s[14:15], -v[205:206]
	v_add_f64_e32 v[135:136], v[135:136], v[147:148]
	s_delay_alu instid0(VALU_DEP_2) | instskip(SKIP_1) | instid1(VALU_DEP_1)
	v_add_f64_e32 v[129:130], v[133:134], v[129:130]
	v_fma_f64 v[133:134], v[209:210], s[12:13], v[211:212]
	v_add_f64_e32 v[127:128], v[133:134], v[127:128]
	v_fma_f64 v[133:134], v[215:216], s[12:13], -v[217:218]
	s_delay_alu instid0(VALU_DEP_1) | instskip(SKIP_1) | instid1(VALU_DEP_1)
	v_add_f64_e32 v[129:130], v[133:134], v[129:130]
	v_fma_f64 v[133:134], v[221:222], s[2:3], v[223:224]
	v_add_f64_e32 v[127:128], v[133:134], v[127:128]
	v_fma_f64 v[133:134], v[227:228], s[2:3], -v[229:230]
	s_delay_alu instid0(VALU_DEP_1) | instskip(SKIP_1) | instid1(VALU_DEP_1)
	v_add_f64_e32 v[129:130], v[133:134], v[129:130]
	v_fma_f64 v[133:134], v[181:182], s[12:13], -v[231:232]
	v_add_f64_e32 v[133:134], v[133:134], v[145:146]
	s_delay_alu instid0(VALU_DEP_1) | instskip(SKIP_1) | instid1(VALU_DEP_1)
	v_add_f64_e32 v[133:134], v[139:140], v[133:134]
	v_fma_f64 v[139:140], v[203:204], s[2:3], v[237:238]
	v_add_f64_e32 v[135:136], v[139:140], v[135:136]
	v_fma_f64 v[139:140], v[209:210], s[14:15], -v[239:240]
	s_delay_alu instid0(VALU_DEP_1) | instskip(SKIP_1) | instid1(VALU_DEP_1)
	v_add_f64_e32 v[133:134], v[139:140], v[133:134]
	v_fma_f64 v[139:140], v[215:216], s[14:15], v[241:242]
	v_add_f64_e32 v[135:136], v[139:140], v[135:136]
	v_fma_f64 v[139:140], v[221:222], s[18:19], -v[243:244]
	;; [unrolled: 5-line block ×3, first 2 shown]
	s_delay_alu instid0(VALU_DEP_1) | instskip(SKIP_1) | instid1(VALU_DEP_2)
	v_add_f64_e32 v[137:138], v[139:140], v[137:138]
	v_fma_f64 v[139:140], v[191:192], s[2:3], v[249:250]
	v_add_f64_e32 v[137:138], v[141:142], v[137:138]
	s_delay_alu instid0(VALU_DEP_2) | instskip(SKIP_2) | instid1(VALU_DEP_2)
	v_add_f64_e32 v[139:140], v[139:140], v[149:150]
	v_fma_f64 v[141:142], v[203:204], s[16:17], v[253:254]
	v_mul_f64_e32 v[149:150], s[24:25], v[213:214]
	v_add_f64_e32 v[139:140], v[141:142], v[139:140]
	v_fma_f64 v[141:142], v[209:210], s[18:19], -v[131:132]
	s_delay_alu instid0(VALU_DEP_2) | instskip(NEXT) | instid1(VALU_DEP_2)
	v_add_f64_e32 v[2:3], v[2:3], v[139:140]
	v_add_f64_e32 v[137:138], v[141:142], v[137:138]
	s_delay_alu instid0(VALU_DEP_1) | instskip(SKIP_1) | instid1(VALU_DEP_1)
	v_add_f64_e32 v[137:138], v[5:6], v[137:138]
	v_mul_f64_e32 v[5:6], s[20:21], v[225:226]
	v_fma_f64 v[139:140], v[227:228], s[12:13], v[5:6]
	v_fma_f64 v[5:6], v[227:228], s[12:13], -v[5:6]
	s_delay_alu instid0(VALU_DEP_2) | instskip(SKIP_1) | instid1(VALU_DEP_1)
	v_add_f64_e32 v[139:140], v[139:140], v[2:3]
	v_mul_f64_e32 v[2:3], s[34:35], v[179:180]
	v_fma_f64 v[141:142], v[181:182], s[14:15], -v[2:3]
	v_fma_f64 v[2:3], v[181:182], s[14:15], v[2:3]
	s_delay_alu instid0(VALU_DEP_2) | instskip(SKIP_1) | instid1(VALU_DEP_3)
	v_add_f64_e32 v[141:142], v[141:142], v[151:152]
	v_mul_f64_e32 v[151:152], s[38:39], v[219:220]
	v_add_f64_e32 v[2:3], v[2:3], v[169:170]
	s_delay_alu instid0(VALU_DEP_3) | instskip(SKIP_1) | instid1(VALU_DEP_1)
	v_add_f64_e32 v[141:142], v[143:144], v[141:142]
	v_fma_f64 v[143:144], v[209:210], s[2:3], -v[13:14]
	v_add_f64_e32 v[141:142], v[143:144], v[141:142]
	v_fma_f64 v[143:144], v[215:216], s[2:3], v[149:150]
	s_delay_alu instid0(VALU_DEP_1) | instskip(SKIP_1) | instid1(VALU_DEP_1)
	v_add_f64_e32 v[9:10], v[143:144], v[9:10]
	v_fma_f64 v[143:144], v[221:222], s[16:17], -v[151:152]
	v_add_f64_e32 v[141:142], v[143:144], v[141:142]
	s_delay_alu instid0(VALU_DEP_3) | instskip(SKIP_3) | instid1(VALU_DEP_3)
	v_add_f64_e32 v[143:144], v[17:18], v[9:10]
	v_mul_f64_e32 v[9:10], s[36:37], v[179:180]
	v_mul_f64_e32 v[179:180], s[20:21], v[201:202]
	;; [unrolled: 1-line block ×3, first 2 shown]
	v_fma_f64 v[17:18], v[181:182], s[18:19], -v[9:10]
	v_fma_f64 v[9:10], v[181:182], s[18:19], v[9:10]
	s_delay_alu instid0(VALU_DEP_2) | instskip(SKIP_4) | instid1(VALU_DEP_4)
	v_add_f64_e32 v[17:18], v[17:18], v[153:154]
	v_mul_f64_e32 v[153:154], s[36:37], v[189:190]
	v_mul_f64_e32 v[189:190], s[38:39], v[207:208]
	;; [unrolled: 1-line block ×3, first 2 shown]
	v_add_f64_e32 v[9:10], v[9:10], v[173:174]
	v_fma_f64 v[145:146], v[191:192], s[18:19], v[153:154]
	s_delay_alu instid0(VALU_DEP_1) | instskip(SKIP_2) | instid1(VALU_DEP_2)
	v_add_f64_e32 v[145:146], v[145:146], v[171:172]
	v_mul_f64_e32 v[171:172], s[20:21], v[195:196]
	v_mul_f64_e32 v[195:196], s[38:39], v[213:214]
	v_fma_f64 v[147:148], v[197:198], s[12:13], -v[171:172]
	s_delay_alu instid0(VALU_DEP_1) | instskip(SKIP_1) | instid1(VALU_DEP_1)
	v_add_f64_e32 v[17:18], v[147:148], v[17:18]
	v_fma_f64 v[147:148], v[203:204], s[12:13], v[179:180]
	v_add_f64_e32 v[145:146], v[147:148], v[145:146]
	v_fma_f64 v[147:148], v[209:210], s[16:17], -v[189:190]
	s_delay_alu instid0(VALU_DEP_1) | instskip(SKIP_1) | instid1(VALU_DEP_1)
	v_add_f64_e32 v[17:18], v[147:148], v[17:18]
	v_fma_f64 v[147:148], v[215:216], s[16:17], v[195:196]
	v_add_f64_e32 v[147:148], v[147:148], v[145:146]
	;; [unrolled: 5-line block ×3, first 2 shown]
	v_fma_f64 v[17:18], v[191:192], s[18:19], -v[153:154]
	v_fma_f64 v[153:154], v[197:198], s[12:13], v[171:172]
	s_delay_alu instid0(VALU_DEP_2) | instskip(NEXT) | instid1(VALU_DEP_2)
	v_add_f64_e32 v[17:18], v[17:18], v[163:164]
	v_add_f64_e32 v[9:10], v[153:154], v[9:10]
	v_fma_f64 v[153:154], v[203:204], s[12:13], -v[179:180]
	v_fma_f64 v[163:164], v[227:228], s[14:15], -v[207:208]
	s_delay_alu instid0(VALU_DEP_2) | instskip(SKIP_1) | instid1(VALU_DEP_1)
	v_add_f64_e32 v[17:18], v[153:154], v[17:18]
	v_fma_f64 v[153:154], v[209:210], s[16:17], v[189:190]
	v_add_f64_e32 v[9:10], v[153:154], v[9:10]
	v_fma_f64 v[153:154], v[215:216], s[16:17], -v[195:196]
	s_delay_alu instid0(VALU_DEP_1) | instskip(SKIP_1) | instid1(VALU_DEP_2)
	v_add_f64_e32 v[17:18], v[153:154], v[17:18]
	v_fma_f64 v[153:154], v[221:222], s[14:15], v[201:202]
	v_add_f64_e32 v[173:174], v[163:164], v[17:18]
	s_delay_alu instid0(VALU_DEP_2) | instskip(SKIP_2) | instid1(VALU_DEP_2)
	v_add_f64_e32 v[171:172], v[153:154], v[9:10]
	v_fma_f64 v[9:10], v[191:192], s[14:15], -v[187:188]
	v_fma_f64 v[17:18], v[197:198], s[18:19], v[155:156]
	v_add_f64_e32 v[9:10], v[9:10], v[161:162]
	s_delay_alu instid0(VALU_DEP_2) | instskip(NEXT) | instid1(VALU_DEP_2)
	v_add_f64_e32 v[2:3], v[17:18], v[2:3]
	v_add_f64_e32 v[7:8], v[7:8], v[9:10]
	v_fma_f64 v[9:10], v[209:210], s[2:3], v[13:14]
	s_delay_alu instid0(VALU_DEP_1) | instskip(SKIP_1) | instid1(VALU_DEP_1)
	v_add_f64_e32 v[2:3], v[9:10], v[2:3]
	v_fma_f64 v[9:10], v[215:216], s[2:3], -v[149:150]
	v_add_f64_e32 v[7:8], v[9:10], v[7:8]
	v_fma_f64 v[9:10], v[221:222], s[16:17], v[151:152]
	s_delay_alu instid0(VALU_DEP_2) | instskip(SKIP_1) | instid1(VALU_DEP_3)
	v_add_f64_e32 v[155:156], v[0:1], v[7:8]
	v_fma_f64 v[0:1], v[181:182], s[2:3], v[247:248]
	v_add_f64_e32 v[153:154], v[9:10], v[2:3]
	v_fma_f64 v[2:3], v[191:192], s[2:3], -v[249:250]
	v_fma_f64 v[7:8], v[197:198], s[16:17], v[251:252]
	v_fma_f64 v[9:10], v[209:210], s[12:13], -v[211:212]
	v_add_f64_e32 v[0:1], v[0:1], v[157:158]
	s_delay_alu instid0(VALU_DEP_4) | instskip(NEXT) | instid1(VALU_DEP_2)
	v_add_f64_e32 v[2:3], v[2:3], v[159:160]
	v_add_f64_e32 v[0:1], v[7:8], v[0:1]
	v_fma_f64 v[7:8], v[203:204], s[16:17], -v[253:254]
	s_delay_alu instid0(VALU_DEP_1) | instskip(SKIP_1) | instid1(VALU_DEP_1)
	v_add_f64_e32 v[2:3], v[7:8], v[2:3]
	v_fma_f64 v[7:8], v[209:210], s[18:19], v[131:132]
	v_add_f64_e32 v[0:1], v[7:8], v[0:1]
	v_fma_f64 v[7:8], v[215:216], s[18:19], -v[11:12]
	v_fma_f64 v[11:12], v[215:216], s[12:13], v[217:218]
	s_delay_alu instid0(VALU_DEP_2) | instskip(SKIP_1) | instid1(VALU_DEP_2)
	v_add_f64_e32 v[2:3], v[7:8], v[2:3]
	v_fma_f64 v[7:8], v[221:222], s[12:13], v[124:125]
	v_add_f64_e32 v[159:160], v[5:6], v[2:3]
	s_delay_alu instid0(VALU_DEP_2) | instskip(SKIP_4) | instid1(VALU_DEP_4)
	v_add_f64_e32 v[157:158], v[7:8], v[0:1]
	v_fma_f64 v[0:1], v[181:182], s[12:13], v[231:232]
	v_fma_f64 v[2:3], v[191:192], s[12:13], -v[233:234]
	v_fma_f64 v[5:6], v[197:198], s[2:3], v[235:236]
	v_fma_f64 v[7:8], v[227:228], s[18:19], -v[245:246]
	v_add_f64_e32 v[0:1], v[0:1], v[167:168]
	s_delay_alu instid0(VALU_DEP_4) | instskip(NEXT) | instid1(VALU_DEP_2)
	v_add_f64_e32 v[2:3], v[2:3], v[177:178]
	v_add_f64_e32 v[0:1], v[5:6], v[0:1]
	v_fma_f64 v[5:6], v[203:204], s[2:3], -v[237:238]
	s_delay_alu instid0(VALU_DEP_1) | instskip(SKIP_1) | instid1(VALU_DEP_1)
	v_add_f64_e32 v[2:3], v[5:6], v[2:3]
	v_fma_f64 v[5:6], v[209:210], s[14:15], v[239:240]
	v_add_f64_e32 v[0:1], v[5:6], v[0:1]
	v_fma_f64 v[5:6], v[215:216], s[14:15], -v[241:242]
	s_delay_alu instid0(VALU_DEP_1) | instskip(SKIP_1) | instid1(VALU_DEP_2)
	v_add_f64_e32 v[2:3], v[5:6], v[2:3]
	v_fma_f64 v[5:6], v[221:222], s[18:19], v[243:244]
	v_add_f64_e32 v[163:164], v[7:8], v[2:3]
	s_delay_alu instid0(VALU_DEP_2) | instskip(SKIP_4) | instid1(VALU_DEP_4)
	v_add_f64_e32 v[161:162], v[5:6], v[0:1]
	v_fma_f64 v[0:1], v[181:182], s[16:17], -v[183:184]
	v_fma_f64 v[2:3], v[191:192], s[16:17], v[193:194]
	v_fma_f64 v[5:6], v[197:198], s[14:15], -v[199:200]
	v_fma_f64 v[7:8], v[203:204], s[14:15], v[205:206]
	v_add_f64_e32 v[0:1], v[0:1], v[175:176]
	s_delay_alu instid0(VALU_DEP_4) | instskip(NEXT) | instid1(VALU_DEP_2)
	v_add_f64_e32 v[2:3], v[2:3], v[165:166]
	v_add_f64_e32 v[0:1], v[5:6], v[0:1]
	s_delay_alu instid0(VALU_DEP_2) | instskip(SKIP_2) | instid1(VALU_DEP_4)
	v_add_f64_e32 v[2:3], v[7:8], v[2:3]
	v_fma_f64 v[5:6], v[221:222], s[2:3], -v[223:224]
	v_fma_f64 v[7:8], v[227:228], s[2:3], v[229:230]
	v_add_f64_e32 v[0:1], v[9:10], v[0:1]
	s_delay_alu instid0(VALU_DEP_4) | instskip(NEXT) | instid1(VALU_DEP_2)
	v_add_f64_e32 v[2:3], v[11:12], v[2:3]
	v_add_f64_e32 v[165:166], v[5:6], v[0:1]
	s_delay_alu instid0(VALU_DEP_2) | instskip(SKIP_2) | instid1(VALU_DEP_2)
	v_add_f64_e32 v[167:168], v[7:8], v[2:3]
	v_add_f64_e32 v[0:1], v[88:89], v[60:61]
	;; [unrolled: 1-line block ×4, first 2 shown]
	s_delay_alu instid0(VALU_DEP_2) | instskip(NEXT) | instid1(VALU_DEP_2)
	v_add_f64_e32 v[2:3], v[2:3], v[70:71]
	v_add_f64_e32 v[0:1], v[0:1], v[72:73]
	s_delay_alu instid0(VALU_DEP_2) | instskip(NEXT) | instid1(VALU_DEP_2)
	v_add_f64_e32 v[2:3], v[2:3], v[74:75]
	v_add_f64_e32 v[0:1], v[0:1], v[76:77]
	;; [unrolled: 3-line block ×7, first 2 shown]
	s_delay_alu instid0(VALU_DEP_2) | instskip(SKIP_1) | instid1(VALU_DEP_1)
	v_add_f64_e32 v[54:55], v[2:3], v[44:45]
	v_and_b32_e32 v0, 0xffff, v16
	v_mul_u32_u24_e32 v0, 0x79, v0
	s_delay_alu instid0(VALU_DEP_1) | instskip(NEXT) | instid1(VALU_DEP_1)
	v_add_nc_u32_e32 v0, v0, v126
	v_lshl_add_u32 v189, v0, 4, v15
	v_mad_co_u64_u32 v[0:1], null, 0xa0, v185, s[10:11]
	ds_store_b128 v189, v[133:136] offset:352
	ds_store_b128 v189, v[137:140] offset:528
	;; [unrolled: 1-line block ×10, first 2 shown]
	ds_store_b128 v189, v[52:55]
	global_wb scope:SCOPE_SE
	s_wait_dscnt 0x0
	s_barrier_signal -1
	s_barrier_wait -1
	global_inv scope:SCOPE_SE
	s_clause 0x1
	global_load_b128 v[7:10], v[0:1], off offset:1760
	global_load_b128 v[52:55], v[0:1], off offset:1776
	ds_load_b128 v[60:63], v186 offset:1936
	ds_load_b128 v[173:176], v186
	s_wait_loadcnt_dscnt 0x101
	v_mul_f64_e32 v[2:3], v[62:63], v[9:10]
	v_mul_f64_e32 v[5:6], v[60:61], v[9:10]
	scratch_store_b128 off, v[7:10], off offset:184 ; 16-byte Folded Spill
	v_fma_f64 v[2:3], v[60:61], v[7:8], -v[2:3]
	v_fma_f64 v[5:6], v[62:63], v[7:8], v[5:6]
	s_clause 0x1
	global_load_b128 v[72:75], v[0:1], off offset:1904
	global_load_b128 v[60:63], v[0:1], off offset:1888
	ds_load_b128 v[64:67], v186 offset:19360
	s_wait_loadcnt_dscnt 0x100
	v_mul_f64_e32 v[7:8], v[64:65], v[74:75]
	s_delay_alu instid0(VALU_DEP_1) | instskip(SKIP_1) | instid1(VALU_DEP_2)
	v_fma_f64 v[124:125], v[66:67], v[72:73], v[7:8]
	v_mul_f64_e32 v[7:8], v[66:67], v[74:75]
	v_add_f64_e32 v[171:172], v[5:6], v[124:125]
	s_delay_alu instid0(VALU_DEP_2)
	v_fma_f64 v[126:127], v[64:65], v[72:73], -v[7:8]
	ds_load_b128 v[64:67], v186 offset:3872
	ds_load_b128 v[76:79], v186 offset:5808
	s_wait_dscnt 0x1
	v_mul_f64_e32 v[7:8], v[64:65], v[54:55]
	v_add_f64_e32 v[15:16], v[2:3], v[126:127]
	s_delay_alu instid0(VALU_DEP_2) | instskip(SKIP_1) | instid1(VALU_DEP_1)
	v_fma_f64 v[133:134], v[66:67], v[52:53], v[7:8]
	v_mul_f64_e32 v[7:8], v[66:67], v[54:55]
	v_fma_f64 v[135:136], v[64:65], v[52:53], -v[7:8]
	ds_load_b128 v[64:67], v186 offset:17424
	ds_load_b128 v[159:162], v186 offset:15488
	s_clause 0x1
	global_load_b128 v[80:83], v[0:1], off offset:1792
	global_load_b128 v[68:71], v[0:1], off offset:1808
	s_wait_loadcnt_dscnt 0x201
	v_mul_f64_e32 v[7:8], v[64:65], v[62:63]
	s_delay_alu instid0(VALU_DEP_1) | instskip(SKIP_1) | instid1(VALU_DEP_2)
	v_fma_f64 v[128:129], v[66:67], v[60:61], v[7:8]
	v_mul_f64_e32 v[7:8], v[66:67], v[62:63]
	v_add_f64_e64 v[208:209], v[133:134], -v[128:129]
	s_delay_alu instid0(VALU_DEP_2)
	v_fma_f64 v[130:131], v[64:65], v[60:61], -v[7:8]
	ds_load_b128 v[64:67], v186 offset:7744
	ds_load_b128 v[84:87], v186 offset:9680
	v_add_f64_e32 v[214:215], v[133:134], v[128:129]
	v_mul_f64_e32 v[44:45], s[20:21], v[208:209]
	v_add_f64_e64 v[210:211], v[135:136], -v[130:131]
	v_mul_f64_e32 v[23:24], s[30:31], v[208:209]
	s_delay_alu instid0(VALU_DEP_2) | instskip(SKIP_3) | instid1(VALU_DEP_1)
	v_mul_f64_e32 v[216:217], s[28:29], v[210:211]
	v_mul_f64_e32 v[250:251], s[20:21], v[210:211]
	s_wait_loadcnt 0x1
	v_mul_f64_e32 v[7:8], v[78:79], v[82:83]
	v_fma_f64 v[137:138], v[76:77], v[80:81], -v[7:8]
	v_mul_f64_e32 v[7:8], v[76:77], v[82:83]
	s_delay_alu instid0(VALU_DEP_1) | instskip(SKIP_2) | instid1(VALU_DEP_1)
	v_fma_f64 v[139:140], v[78:79], v[80:81], v[7:8]
	s_wait_loadcnt_dscnt 0x1
	v_mul_f64_e32 v[7:8], v[66:67], v[70:71]
	v_fma_f64 v[141:142], v[64:65], v[68:69], -v[7:8]
	v_mul_f64_e32 v[7:8], v[64:65], v[70:71]
	s_delay_alu instid0(VALU_DEP_1)
	v_fma_f64 v[143:144], v[66:67], v[68:69], v[7:8]
	s_clause 0x1
	global_load_b128 v[76:79], v[0:1], off offset:1824
	global_load_b128 v[64:67], v[0:1], off offset:1840
	s_wait_loadcnt_dscnt 0x100
	v_mul_f64_e32 v[7:8], v[86:87], v[78:79]
	s_delay_alu instid0(VALU_DEP_1) | instskip(SKIP_1) | instid1(VALU_DEP_1)
	v_fma_f64 v[145:146], v[84:85], v[76:77], -v[7:8]
	v_mul_f64_e32 v[7:8], v[84:85], v[78:79]
	v_fma_f64 v[147:148], v[86:87], v[76:77], v[7:8]
	ds_load_b128 v[84:87], v186 offset:11616
	ds_load_b128 v[155:158], v186 offset:13552
	s_wait_loadcnt_dscnt 0x1
	v_mul_f64_e32 v[7:8], v[86:87], v[66:67]
	s_delay_alu instid0(VALU_DEP_1) | instskip(SKIP_1) | instid1(VALU_DEP_2)
	v_fma_f64 v[149:150], v[84:85], v[64:65], -v[7:8]
	v_mul_f64_e32 v[7:8], v[84:85], v[66:67]
	v_add_f64_e32 v[242:243], v[145:146], v[149:150]
	s_delay_alu instid0(VALU_DEP_2)
	v_fma_f64 v[151:152], v[86:87], v[64:65], v[7:8]
	s_clause 0x1
	global_load_b128 v[84:87], v[0:1], off offset:1856
	global_load_b128 v[88:91], v[0:1], off offset:1872
	v_add_f64_e64 v[240:241], v[147:148], -v[151:152]
	v_add_f64_e32 v[246:247], v[147:148], v[151:152]
	s_delay_alu instid0(VALU_DEP_2) | instskip(SKIP_3) | instid1(VALU_DEP_1)
	v_mul_f64_e32 v[244:245], s[24:25], v[240:241]
	v_mul_f64_e32 v[57:58], s[36:37], v[240:241]
	s_wait_loadcnt_dscnt 0x100
	v_mul_f64_e32 v[0:1], v[157:158], v[86:87]
	v_fma_f64 v[153:154], v[155:156], v[84:85], -v[0:1]
	v_mul_f64_e32 v[0:1], v[155:156], v[86:87]
	s_delay_alu instid0(VALU_DEP_2) | instskip(NEXT) | instid1(VALU_DEP_2)
	v_add_f64_e32 v[230:231], v[141:142], v[153:154]
	v_fma_f64 v[155:156], v[157:158], v[84:85], v[0:1]
	s_wait_loadcnt 0x0
	v_mul_f64_e32 v[0:1], v[161:162], v[90:91]
	v_add_f64_e64 v[234:235], v[141:142], -v[153:154]
	s_delay_alu instid0(VALU_DEP_3) | instskip(NEXT) | instid1(VALU_DEP_3)
	v_add_f64_e64 v[228:229], v[143:144], -v[155:156]
	v_fma_f64 v[157:158], v[159:160], v[88:89], -v[0:1]
	v_mul_f64_e32 v[0:1], v[159:160], v[90:91]
	v_add_f64_e32 v[236:237], v[143:144], v[155:156]
	v_mul_f64_e32 v[238:239], s[20:21], v[234:235]
	v_mul_f64_e32 v[32:33], s[34:35], v[234:235]
	;; [unrolled: 1-line block ×3, first 2 shown]
	v_add_f64_e32 v[218:219], v[137:138], v[157:158]
	v_fma_f64 v[159:160], v[161:162], v[88:89], v[0:1]
	v_add_f64_e64 v[0:1], v[5:6], -v[124:125]
	v_add_f64_e64 v[222:223], v[137:138], -v[157:158]
	v_fma_f64 v[26:27], v[236:237], s[14:15], v[32:33]
	v_mul_f64_e32 v[36:37], s[34:35], v[228:229]
	v_add_f64_e64 v[212:213], v[139:140], -v[159:160]
	v_mul_f64_e32 v[7:8], s[22:23], v[0:1]
	v_mul_f64_e32 v[9:10], s[28:29], v[0:1]
	v_mul_f64_e32 v[11:12], s[26:27], v[0:1]
	v_mul_f64_e32 v[13:14], s[20:21], v[0:1]
	v_mul_f64_e32 v[0:1], s[24:25], v[0:1]
	v_add_f64_e32 v[224:225], v[139:140], v[159:160]
	v_mul_f64_e32 v[226:227], s[26:27], v[222:223]
	v_mul_f64_e32 v[40:41], s[30:31], v[222:223]
	;; [unrolled: 1-line block ×3, first 2 shown]
	v_fma_f64 v[17:18], v[15:16], s[18:19], -v[7:8]
	v_fma_f64 v[7:8], v[15:16], s[18:19], v[7:8]
	v_fma_f64 v[169:170], v[15:16], s[16:17], -v[9:10]
	v_fma_f64 v[9:10], v[15:16], s[16:17], v[9:10]
	;; [unrolled: 2-line block ×5, first 2 shown]
	v_add_f64_e64 v[15:16], v[2:3], -v[126:127]
	v_add_f64_e32 v[2:3], v[173:174], v[2:3]
	v_fma_f64 v[21:22], v[224:225], s[2:3], v[40:41]
	v_mul_f64_e32 v[252:253], s[30:31], v[212:213]
	v_add_f64_e32 v[19:20], v[173:174], v[177:178]
	v_add_f64_e32 v[28:29], v[173:174], v[181:182]
	v_mul_f64_e32 v[161:162], s[22:23], v[15:16]
	v_mul_f64_e32 v[163:164], s[28:29], v[15:16]
	;; [unrolled: 1-line block ×5, first 2 shown]
	scratch_store_b64 off, v[2:3], off offset:216 ; 8-byte Folded Spill
	v_add_f64_e32 v[2:3], v[175:176], v[5:6]
	v_fma_f64 v[179:180], v[171:172], s[18:19], v[161:162]
	v_fma_f64 v[183:184], v[171:172], s[18:19], -v[161:162]
	v_fma_f64 v[190:191], v[171:172], s[16:17], v[163:164]
	v_fma_f64 v[192:193], v[171:172], s[16:17], -v[163:164]
	;; [unrolled: 2-line block ×5, first 2 shown]
	scratch_store_b64 off, v[2:3], off offset:224 ; 8-byte Folded Spill
	v_add_f64_e32 v[2:3], v[173:174], v[17:18]
	v_add_f64_e32 v[171:172], v[173:174], v[9:10]
	;; [unrolled: 1-line block ×4, first 2 shown]
	v_mul_f64_e32 v[0:1], s[38:39], v[240:241]
	v_add_f64_e32 v[167:168], v[175:176], v[179:180]
	v_add_f64_e32 v[5:6], v[175:176], v[183:184]
	;; [unrolled: 1-line block ×11, first 2 shown]
	scratch_store_b64 off, v[2:3], off offset:232 ; 8-byte Folded Spill
	v_add_f64_e32 v[2:3], v[173:174], v[7:8]
	v_add_f64_e32 v[7:8], v[173:174], v[169:170]
	;; [unrolled: 1-line block ×4, first 2 shown]
	v_mul_f64_e32 v[175:176], s[28:29], v[208:209]
	v_mul_f64_e32 v[14:15], s[22:23], v[228:229]
	;; [unrolled: 1-line block ×5, first 2 shown]
	v_fma_f64 v[194:195], v[173:174], s[12:13], -v[44:45]
	v_fma_f64 v[190:191], v[173:174], s[16:17], v[175:176]
	v_fma_f64 v[198:199], v[173:174], s[2:3], -v[23:24]
	v_fma_f64 v[38:39], v[230:231], s[18:19], -v[14:15]
	;; [unrolled: 1-line block ×3, first 2 shown]
	v_add_f64_e32 v[7:8], v[194:195], v[7:8]
	v_add_f64_e32 v[2:3], v[190:191], v[2:3]
	v_fma_f64 v[190:191], v[214:215], s[16:17], -v[216:217]
	v_fma_f64 v[194:195], v[214:215], s[12:13], v[250:251]
	v_add_f64_e32 v[19:20], v[198:199], v[19:20]
	s_delay_alu instid0(VALU_DEP_3) | instskip(SKIP_1) | instid1(VALU_DEP_4)
	v_add_f64_e32 v[5:6], v[190:191], v[5:6]
	v_fma_f64 v[190:191], v[218:219], s[14:15], v[220:221]
	v_add_f64_e32 v[17:18], v[194:195], v[17:18]
	v_fma_f64 v[194:195], v[218:219], s[2:3], -v[252:253]
	s_delay_alu instid0(VALU_DEP_3) | instskip(SKIP_1) | instid1(VALU_DEP_4)
	v_add_f64_e32 v[2:3], v[190:191], v[2:3]
	v_fma_f64 v[190:191], v[224:225], s[14:15], -v[226:227]
	v_add_f64_e32 v[17:18], v[21:22], v[17:18]
	v_mul_f64_e32 v[21:22], s[30:31], v[210:211]
	v_add_f64_e32 v[7:8], v[194:195], v[7:8]
	v_fma_f64 v[194:195], v[230:231], s[14:15], -v[36:37]
	v_add_f64_e32 v[5:6], v[190:191], v[5:6]
	v_fma_f64 v[190:191], v[230:231], s[12:13], v[232:233]
	v_add_f64_e32 v[17:18], v[26:27], v[17:18]
	v_fma_f64 v[30:31], v[214:215], s[2:3], v[21:22]
	v_add_f64_e32 v[7:8], v[194:195], v[7:8]
	v_fma_f64 v[194:195], v[242:243], s[18:19], -v[57:58]
	v_add_f64_e32 v[2:3], v[190:191], v[2:3]
	v_fma_f64 v[190:191], v[236:237], s[12:13], -v[238:239]
	v_add_f64_e32 v[30:31], v[30:31], v[204:205]
	v_fma_f64 v[204:205], v[218:219], s[18:19], -v[10:11]
	v_add_f64_e32 v[194:195], v[194:195], v[7:8]
	v_mul_f64_e32 v[8:9], s[22:23], v[222:223]
	v_fma_f64 v[10:11], v[218:219], s[18:19], v[10:11]
	v_add_f64_e32 v[5:6], v[190:191], v[5:6]
	v_fma_f64 v[190:191], v[242:243], s[2:3], v[244:245]
	s_delay_alu instid0(VALU_DEP_1) | instskip(SKIP_1) | instid1(VALU_DEP_1)
	v_add_f64_e32 v[190:191], v[190:191], v[2:3]
	v_add_f64_e64 v[2:3], v[145:146], -v[149:150]
	v_mul_f64_e32 v[25:26], s[36:37], v[2:3]
	v_mul_f64_e32 v[248:249], s[24:25], v[2:3]
	s_delay_alu instid0(VALU_DEP_2) | instskip(NEXT) | instid1(VALU_DEP_2)
	v_fma_f64 v[196:197], v[246:247], s[18:19], v[25:26]
	v_fma_f64 v[192:193], v[246:247], s[2:3], -v[248:249]
	s_delay_alu instid0(VALU_DEP_2) | instskip(SKIP_1) | instid1(VALU_DEP_3)
	v_add_f64_e32 v[196:197], v[196:197], v[17:18]
	v_mul_f64_e32 v[16:17], s[38:39], v[212:213]
	v_add_f64_e32 v[192:193], v[192:193], v[5:6]
	v_mul_f64_e32 v[6:7], s[24:25], v[228:229]
	v_mul_f64_e32 v[4:5], s[24:25], v[234:235]
	;; [unrolled: 1-line block ×4, first 2 shown]
	v_fma_f64 v[34:35], v[218:219], s[16:17], -v[16:17]
	s_delay_alu instid0(VALU_DEP_4) | instskip(SKIP_1) | instid1(VALU_DEP_3)
	v_fma_f64 v[46:47], v[236:237], s[2:3], v[4:5]
	v_fma_f64 v[4:5], v[236:237], s[2:3], -v[4:5]
	v_add_f64_e32 v[19:20], v[34:35], v[19:20]
	v_mul_f64_e32 v[34:35], s[38:39], v[222:223]
	v_mul_f64_e32 v[222:223], s[20:21], v[222:223]
	s_delay_alu instid0(VALU_DEP_3) | instskip(NEXT) | instid1(VALU_DEP_3)
	v_add_f64_e32 v[19:20], v[38:39], v[19:20]
	v_fma_f64 v[198:199], v[224:225], s[16:17], v[34:35]
	v_mul_f64_e32 v[38:39], s[22:23], v[234:235]
	v_mul_f64_e32 v[234:235], s[38:39], v[234:235]
	s_delay_alu instid0(VALU_DEP_3) | instskip(NEXT) | instid1(VALU_DEP_3)
	v_add_f64_e32 v[30:31], v[198:199], v[30:31]
	v_fma_f64 v[198:199], v[236:237], s[18:19], v[38:39]
	s_delay_alu instid0(VALU_DEP_1) | instskip(SKIP_2) | instid1(VALU_DEP_1)
	v_add_f64_e32 v[30:31], v[198:199], v[30:31]
	v_add_f64_e32 v[198:199], v[42:43], v[19:20]
	v_mul_f64_e32 v[19:20], s[20:21], v[2:3]
	v_fma_f64 v[42:43], v[246:247], s[12:13], v[19:20]
	s_delay_alu instid0(VALU_DEP_1) | instskip(SKIP_1) | instid1(VALU_DEP_1)
	v_add_f64_e32 v[200:201], v[42:43], v[30:31]
	v_mul_f64_e32 v[30:31], s[34:35], v[208:209]
	v_fma_f64 v[42:43], v[173:174], s[14:15], -v[30:31]
	s_delay_alu instid0(VALU_DEP_1) | instskip(SKIP_2) | instid1(VALU_DEP_3)
	v_add_f64_e32 v[28:29], v[42:43], v[28:29]
	v_mul_f64_e32 v[42:43], s[34:35], v[210:211]
	v_mul_f64_e32 v[210:211], s[36:37], v[210:211]
	v_add_f64_e32 v[28:29], v[204:205], v[28:29]
	s_delay_alu instid0(VALU_DEP_3) | instskip(SKIP_2) | instid1(VALU_DEP_3)
	v_fma_f64 v[202:203], v[214:215], s[14:15], v[42:43]
	v_fma_f64 v[204:205], v[224:225], s[18:19], v[8:9]
	v_fma_f64 v[8:9], v[224:225], s[18:19], -v[8:9]
	v_add_f64_e32 v[202:203], v[202:203], v[206:207]
	s_delay_alu instid0(VALU_DEP_1) | instskip(SKIP_2) | instid1(VALU_DEP_3)
	v_add_f64_e32 v[202:203], v[204:205], v[202:203]
	v_fma_f64 v[204:205], v[230:231], s[2:3], -v[6:7]
	v_fma_f64 v[6:7], v[230:231], s[2:3], v[6:7]
	v_add_f64_e32 v[46:47], v[46:47], v[202:203]
	s_delay_alu instid0(VALU_DEP_3) | instskip(SKIP_2) | instid1(VALU_DEP_2)
	v_add_f64_e32 v[28:29], v[204:205], v[28:29]
	v_fma_f64 v[202:203], v[242:243], s[16:17], -v[0:1]
	v_fma_f64 v[0:1], v[242:243], s[16:17], v[0:1]
	v_add_f64_e32 v[202:203], v[202:203], v[28:29]
	v_mul_f64_e32 v[27:28], s[38:39], v[2:3]
	v_mul_f64_e32 v[2:3], s[26:27], v[2:3]
	s_delay_alu instid0(VALU_DEP_2) | instskip(NEXT) | instid1(VALU_DEP_1)
	v_fma_f64 v[204:205], v[246:247], s[16:17], v[27:28]
	v_add_f64_e32 v[204:205], v[204:205], v[46:47]
	v_mul_f64_e32 v[46:47], s[36:37], v[208:209]
	s_delay_alu instid0(VALU_DEP_1) | instskip(SKIP_1) | instid1(VALU_DEP_2)
	v_fma_f64 v[206:207], v[173:174], s[18:19], -v[46:47]
	v_fma_f64 v[46:47], v[173:174], s[18:19], v[46:47]
	v_add_f64_e32 v[161:162], v[206:207], v[161:162]
	v_fma_f64 v[206:207], v[214:215], s[18:19], v[210:211]
	s_delay_alu instid0(VALU_DEP_3) | instskip(SKIP_1) | instid1(VALU_DEP_3)
	v_add_f64_e32 v[46:47], v[46:47], v[163:164]
	v_fma_f64 v[163:164], v[218:219], s[12:13], v[212:213]
	v_add_f64_e32 v[187:188], v[206:207], v[187:188]
	v_fma_f64 v[206:207], v[218:219], s[12:13], -v[212:213]
	s_delay_alu instid0(VALU_DEP_3) | instskip(SKIP_1) | instid1(VALU_DEP_3)
	v_add_f64_e32 v[46:47], v[163:164], v[46:47]
	v_fma_f64 v[163:164], v[224:225], s[12:13], -v[222:223]
	v_add_f64_e32 v[161:162], v[206:207], v[161:162]
	v_fma_f64 v[206:207], v[224:225], s[12:13], v[222:223]
	s_delay_alu instid0(VALU_DEP_1) | instskip(SKIP_1) | instid1(VALU_DEP_1)
	v_add_f64_e32 v[187:188], v[206:207], v[187:188]
	v_fma_f64 v[206:207], v[230:231], s[16:17], -v[228:229]
	v_add_f64_e32 v[161:162], v[206:207], v[161:162]
	v_fma_f64 v[206:207], v[236:237], s[16:17], v[234:235]
	s_delay_alu instid0(VALU_DEP_1) | instskip(SKIP_1) | instid1(VALU_DEP_1)
	v_add_f64_e32 v[187:188], v[206:207], v[187:188]
	v_fma_f64 v[206:207], v[242:243], s[14:15], -v[240:241]
	v_add_f64_e32 v[206:207], v[206:207], v[161:162]
	v_fma_f64 v[161:162], v[246:247], s[14:15], v[2:3]
	v_fma_f64 v[2:3], v[246:247], s[14:15], -v[2:3]
	s_delay_alu instid0(VALU_DEP_2) | instskip(SKIP_1) | instid1(VALU_DEP_1)
	v_add_f64_e32 v[208:209], v[161:162], v[187:188]
	v_fma_f64 v[161:162], v[214:215], s[18:19], -v[210:211]
	v_add_f64_e32 v[161:162], v[161:162], v[165:166]
	s_delay_alu instid0(VALU_DEP_1) | instskip(SKIP_1) | instid1(VALU_DEP_1)
	v_add_f64_e32 v[161:162], v[163:164], v[161:162]
	v_fma_f64 v[163:164], v[230:231], s[16:17], v[228:229]
	v_add_f64_e32 v[46:47], v[163:164], v[46:47]
	v_fma_f64 v[163:164], v[236:237], s[16:17], -v[234:235]
	s_delay_alu instid0(VALU_DEP_1) | instskip(SKIP_1) | instid1(VALU_DEP_2)
	v_add_f64_e32 v[161:162], v[163:164], v[161:162]
	v_fma_f64 v[163:164], v[242:243], s[14:15], v[240:241]
	v_add_f64_e32 v[212:213], v[2:3], v[161:162]
	v_fma_f64 v[2:3], v[173:174], s[14:15], v[30:31]
	v_fma_f64 v[29:30], v[214:215], s[14:15], -v[42:43]
	s_delay_alu instid0(VALU_DEP_4) | instskip(NEXT) | instid1(VALU_DEP_3)
	v_add_f64_e32 v[210:211], v[163:164], v[46:47]
	v_add_f64_e32 v[2:3], v[2:3], v[183:184]
	s_delay_alu instid0(VALU_DEP_3) | instskip(NEXT) | instid1(VALU_DEP_2)
	v_add_f64_e32 v[29:30], v[29:30], v[181:182]
	v_add_f64_e32 v[2:3], v[10:11], v[2:3]
	s_delay_alu instid0(VALU_DEP_2) | instskip(SKIP_1) | instid1(VALU_DEP_3)
	v_add_f64_e32 v[8:9], v[8:9], v[29:30]
	v_fma_f64 v[10:11], v[236:237], s[12:13], v[238:239]
	v_add_f64_e32 v[2:3], v[6:7], v[2:3]
	s_delay_alu instid0(VALU_DEP_3)
	v_add_f64_e32 v[4:5], v[4:5], v[8:9]
	v_fma_f64 v[6:7], v[246:247], s[16:17], -v[27:28]
	scratch_load_b64 v[8:9], off, off offset:232 th:TH_LOAD_LU ; 8-byte Folded Reload
	v_add_f64_e32 v[181:182], v[0:1], v[2:3]
	v_fma_f64 v[0:1], v[173:174], s[2:3], v[23:24]
	v_add_f64_e32 v[183:184], v[6:7], v[4:5]
	v_fma_f64 v[2:3], v[214:215], s[2:3], -v[21:22]
	v_fma_f64 v[4:5], v[218:219], s[16:17], v[16:17]
	v_fma_f64 v[6:7], v[246:247], s[12:13], -v[19:20]
	v_add_f64_e32 v[0:1], v[0:1], v[179:180]
	s_delay_alu instid0(VALU_DEP_4) | instskip(NEXT) | instid1(VALU_DEP_2)
	v_add_f64_e32 v[2:3], v[2:3], v[177:178]
	v_add_f64_e32 v[0:1], v[4:5], v[0:1]
	v_fma_f64 v[4:5], v[224:225], s[16:17], -v[34:35]
	s_delay_alu instid0(VALU_DEP_1) | instskip(SKIP_1) | instid1(VALU_DEP_1)
	v_add_f64_e32 v[2:3], v[4:5], v[2:3]
	v_fma_f64 v[4:5], v[230:231], s[18:19], v[14:15]
	v_add_f64_e32 v[0:1], v[4:5], v[0:1]
	v_fma_f64 v[4:5], v[236:237], s[18:19], -v[38:39]
	s_delay_alu instid0(VALU_DEP_1) | instskip(SKIP_1) | instid1(VALU_DEP_2)
	v_add_f64_e32 v[2:3], v[4:5], v[2:3]
	v_fma_f64 v[4:5], v[242:243], s[12:13], v[12:13]
	v_add_f64_e32 v[179:180], v[6:7], v[2:3]
	s_delay_alu instid0(VALU_DEP_2) | instskip(SKIP_4) | instid1(VALU_DEP_4)
	v_add_f64_e32 v[177:178], v[4:5], v[0:1]
	v_fma_f64 v[0:1], v[173:174], s[12:13], v[44:45]
	v_fma_f64 v[2:3], v[214:215], s[12:13], -v[250:251]
	v_fma_f64 v[4:5], v[218:219], s[2:3], v[252:253]
	v_fma_f64 v[6:7], v[246:247], s[18:19], -v[25:26]
	v_add_f64_e32 v[0:1], v[0:1], v[171:172]
	s_delay_alu instid0(VALU_DEP_4) | instskip(NEXT) | instid1(VALU_DEP_2)
	v_add_f64_e32 v[2:3], v[2:3], v[169:170]
	v_add_f64_e32 v[0:1], v[4:5], v[0:1]
	v_fma_f64 v[4:5], v[224:225], s[2:3], -v[40:41]
	s_delay_alu instid0(VALU_DEP_1) | instskip(SKIP_1) | instid1(VALU_DEP_1)
	v_add_f64_e32 v[2:3], v[4:5], v[2:3]
	v_fma_f64 v[4:5], v[230:231], s[14:15], v[36:37]
	v_add_f64_e32 v[0:1], v[4:5], v[0:1]
	v_fma_f64 v[4:5], v[236:237], s[14:15], -v[32:33]
	s_delay_alu instid0(VALU_DEP_1) | instskip(SKIP_1) | instid1(VALU_DEP_2)
	v_add_f64_e32 v[2:3], v[4:5], v[2:3]
	v_fma_f64 v[4:5], v[242:243], s[18:19], v[57:58]
	v_add_f64_e32 v[171:172], v[6:7], v[2:3]
	s_delay_alu instid0(VALU_DEP_2)
	v_add_f64_e32 v[169:170], v[4:5], v[0:1]
	v_fma_f64 v[0:1], v[173:174], s[16:17], -v[175:176]
	v_fma_f64 v[2:3], v[214:215], s[16:17], v[216:217]
	v_fma_f64 v[4:5], v[218:219], s[14:15], -v[220:221]
	v_fma_f64 v[6:7], v[224:225], s[14:15], v[226:227]
	s_wait_loadcnt 0x0
	s_delay_alu instid0(VALU_DEP_4) | instskip(NEXT) | instid1(VALU_DEP_4)
	v_add_f64_e32 v[0:1], v[0:1], v[8:9]
	v_add_f64_e32 v[2:3], v[2:3], v[167:168]
	v_fma_f64 v[8:9], v[230:231], s[12:13], -v[232:233]
	s_delay_alu instid0(VALU_DEP_3) | instskip(NEXT) | instid1(VALU_DEP_3)
	v_add_f64_e32 v[0:1], v[4:5], v[0:1]
	v_add_f64_e32 v[2:3], v[6:7], v[2:3]
	v_fma_f64 v[4:5], v[242:243], s[2:3], -v[244:245]
	v_fma_f64 v[6:7], v[246:247], s[2:3], v[248:249]
	s_delay_alu instid0(VALU_DEP_4) | instskip(NEXT) | instid1(VALU_DEP_4)
	v_add_f64_e32 v[0:1], v[8:9], v[0:1]
	v_add_f64_e32 v[2:3], v[10:11], v[2:3]
	s_delay_alu instid0(VALU_DEP_2) | instskip(NEXT) | instid1(VALU_DEP_2)
	v_add_f64_e32 v[165:166], v[4:5], v[0:1]
	v_add_f64_e32 v[167:168], v[6:7], v[2:3]
	s_clause 0x1
	scratch_load_b64 v[0:1], off, off offset:216 th:TH_LOAD_LU
	scratch_load_b64 v[2:3], off, off offset:224 th:TH_LOAD_LU
	s_wait_loadcnt 0x1
	v_add_f64_e32 v[0:1], v[0:1], v[135:136]
	s_wait_loadcnt 0x0
	v_add_f64_e32 v[2:3], v[2:3], v[133:134]
	s_delay_alu instid0(VALU_DEP_2) | instskip(NEXT) | instid1(VALU_DEP_2)
	v_add_f64_e32 v[0:1], v[0:1], v[137:138]
	v_add_f64_e32 v[2:3], v[2:3], v[139:140]
	s_delay_alu instid0(VALU_DEP_2) | instskip(NEXT) | instid1(VALU_DEP_2)
	v_add_f64_e32 v[0:1], v[0:1], v[141:142]
	;; [unrolled: 3-line block ×8, first 2 shown]
	v_add_f64_e32 v[128:129], v[2:3], v[124:125]
	ds_store_b128 v186, v[194:197] offset:3872
	ds_store_b128 v186, v[198:201] offset:5808
	;; [unrolled: 1-line block ×10, first 2 shown]
	ds_store_b128 v186, v[126:129]
	global_wb scope:SCOPE_SE
	s_wait_storecnt_dscnt 0x0
	s_barrier_signal -1
	s_barrier_wait -1
	global_inv scope:SCOPE_SE
	global_load_b128 v[124:127], v255, s[8:9] offset:21296
	s_add_nc_u64 s[8:9], s[8:9], 0x5330
	ds_load_b128 v[128:131], v186
	ds_load_b128 v[133:136], v186 offset:1936
	s_clause 0x1
	global_load_b128 v[137:140], v255, s[8:9] offset:1936
	global_load_b128 v[141:144], v255, s[8:9] offset:3872
	s_wait_loadcnt_dscnt 0x201
	v_mul_f64_e32 v[0:1], v[130:131], v[126:127]
	v_mul_f64_e32 v[2:3], v[128:129], v[126:127]
	s_delay_alu instid0(VALU_DEP_2) | instskip(NEXT) | instid1(VALU_DEP_2)
	v_fma_f64 v[126:127], v[128:129], v[124:125], -v[0:1]
	v_fma_f64 v[128:129], v[130:131], v[124:125], v[2:3]
	s_wait_loadcnt_dscnt 0x100
	v_mul_f64_e32 v[0:1], v[135:136], v[139:140]
	v_mul_f64_e32 v[2:3], v[133:134], v[139:140]
	s_delay_alu instid0(VALU_DEP_2) | instskip(NEXT) | instid1(VALU_DEP_2)
	v_fma_f64 v[133:134], v[133:134], v[137:138], -v[0:1]
	v_fma_f64 v[135:136], v[135:136], v[137:138], v[2:3]
	ds_load_b128 v[137:140], v186 offset:3872
	ds_load_b128 v[145:148], v186 offset:5808
	s_wait_loadcnt_dscnt 0x1
	v_mul_f64_e32 v[0:1], v[139:140], v[143:144]
	v_mul_f64_e32 v[2:3], v[137:138], v[143:144]
	s_delay_alu instid0(VALU_DEP_2) | instskip(NEXT) | instid1(VALU_DEP_2)
	v_fma_f64 v[137:138], v[137:138], v[141:142], -v[0:1]
	v_fma_f64 v[139:140], v[139:140], v[141:142], v[2:3]
	s_clause 0x1
	global_load_b128 v[141:144], v255, s[8:9] offset:5808
	global_load_b128 v[149:152], v255, s[8:9] offset:7744
	ds_load_b128 v[153:156], v186 offset:7744
	ds_load_b128 v[157:160], v186 offset:9680
	s_wait_loadcnt_dscnt 0x102
	v_mul_f64_e32 v[0:1], v[147:148], v[143:144]
	v_mul_f64_e32 v[2:3], v[145:146], v[143:144]
	s_delay_alu instid0(VALU_DEP_2) | instskip(SKIP_2) | instid1(VALU_DEP_3)
	v_fma_f64 v[143:144], v[145:146], v[141:142], -v[0:1]
	s_wait_loadcnt_dscnt 0x1
	v_mul_f64_e32 v[0:1], v[155:156], v[151:152]
	v_fma_f64 v[145:146], v[147:148], v[141:142], v[2:3]
	v_mul_f64_e32 v[2:3], v[153:154], v[151:152]
	s_delay_alu instid0(VALU_DEP_3)
	v_fma_f64 v[147:148], v[153:154], v[149:150], -v[0:1]
	s_clause 0x1
	global_load_b128 v[151:154], v255, s[8:9] offset:9680
	global_load_b128 v[161:164], v255, s[8:9] offset:11616
	v_fma_f64 v[149:150], v[155:156], v[149:150], v[2:3]
	s_wait_loadcnt_dscnt 0x100
	v_mul_f64_e32 v[0:1], v[159:160], v[153:154]
	v_mul_f64_e32 v[2:3], v[157:158], v[153:154]
	s_delay_alu instid0(VALU_DEP_2) | instskip(NEXT) | instid1(VALU_DEP_2)
	v_fma_f64 v[153:154], v[157:158], v[151:152], -v[0:1]
	v_fma_f64 v[155:156], v[159:160], v[151:152], v[2:3]
	ds_load_b128 v[157:160], v186 offset:11616
	ds_load_b128 v[165:168], v186 offset:13552
	s_wait_loadcnt_dscnt 0x1
	v_mul_f64_e32 v[0:1], v[159:160], v[163:164]
	v_mul_f64_e32 v[2:3], v[157:158], v[163:164]
	s_delay_alu instid0(VALU_DEP_2) | instskip(NEXT) | instid1(VALU_DEP_2)
	v_fma_f64 v[157:158], v[157:158], v[161:162], -v[0:1]
	v_fma_f64 v[159:160], v[159:160], v[161:162], v[2:3]
	s_clause 0x1
	global_load_b128 v[161:164], v255, s[8:9] offset:13552
	global_load_b128 v[169:172], v255, s[8:9] offset:15488
	ds_load_b128 v[173:176], v186 offset:15488
	ds_load_b128 v[177:180], v186 offset:17424
	s_wait_loadcnt_dscnt 0x102
	v_mul_f64_e32 v[0:1], v[167:168], v[163:164]
	v_mul_f64_e32 v[2:3], v[165:166], v[163:164]
	s_delay_alu instid0(VALU_DEP_2) | instskip(SKIP_2) | instid1(VALU_DEP_3)
	v_fma_f64 v[163:164], v[165:166], v[161:162], -v[0:1]
	s_wait_loadcnt_dscnt 0x1
	v_mul_f64_e32 v[0:1], v[175:176], v[171:172]
	v_fma_f64 v[165:166], v[167:168], v[161:162], v[2:3]
	v_mul_f64_e32 v[2:3], v[173:174], v[171:172]
	s_delay_alu instid0(VALU_DEP_3)
	v_fma_f64 v[167:168], v[173:174], v[169:170], -v[0:1]
	s_clause 0x1
	global_load_b128 v[171:174], v255, s[8:9] offset:17424
	global_load_b128 v[181:184], v255, s[8:9] offset:19360
	v_fma_f64 v[169:170], v[175:176], v[169:170], v[2:3]
	s_mov_b32 s9, 0x3fe82f19
	s_mov_b32 s8, s20
	s_wait_loadcnt_dscnt 0x100
	v_mul_f64_e32 v[0:1], v[179:180], v[173:174]
	v_mul_f64_e32 v[2:3], v[177:178], v[173:174]
	s_delay_alu instid0(VALU_DEP_2) | instskip(NEXT) | instid1(VALU_DEP_2)
	v_fma_f64 v[173:174], v[177:178], v[171:172], -v[0:1]
	v_fma_f64 v[175:176], v[179:180], v[171:172], v[2:3]
	ds_load_b128 v[177:180], v186 offset:19360
	s_wait_loadcnt_dscnt 0x0
	v_mul_f64_e32 v[0:1], v[179:180], v[183:184]
	v_mul_f64_e32 v[2:3], v[177:178], v[183:184]
	s_delay_alu instid0(VALU_DEP_2) | instskip(NEXT) | instid1(VALU_DEP_2)
	v_fma_f64 v[177:178], v[177:178], v[181:182], -v[0:1]
	v_fma_f64 v[179:180], v[179:180], v[181:182], v[2:3]
	ds_store_b128 v186, v[126:129]
	ds_store_b128 v186, v[133:136] offset:1936
	ds_store_b128 v186, v[137:140] offset:3872
	;; [unrolled: 1-line block ×10, first 2 shown]
	global_wb scope:SCOPE_SE
	s_wait_dscnt 0x0
	s_barrier_signal -1
	s_barrier_wait -1
	global_inv scope:SCOPE_SE
	ds_load_b128 v[124:127], v186
	ds_load_b128 v[128:131], v186 offset:1936
	ds_load_b128 v[147:150], v186 offset:3872
	;; [unrolled: 1-line block ×7, first 2 shown]
	s_wait_dscnt 0x6
	v_add_f64_e32 v[0:1], v[124:125], v[128:129]
	v_add_f64_e32 v[2:3], v[126:127], v[130:131]
	s_wait_dscnt 0x1
	v_add_f64_e32 v[133:134], v[135:136], v[151:152]
	v_add_f64_e32 v[4:5], v[137:138], v[153:154]
	v_add_f64_e64 v[6:7], v[137:138], -v[153:154]
	s_wait_dscnt 0x0
	v_add_f64_e32 v[8:9], v[141:142], v[157:158]
	v_add_f64_e64 v[10:11], v[141:142], -v[157:158]
	v_add_f64_e32 v[0:1], v[0:1], v[147:148]
	v_add_f64_e32 v[2:3], v[2:3], v[149:150]
	v_mul_f64_e32 v[196:197], s[24:25], v[6:7]
	v_mul_f64_e32 v[194:195], s[12:13], v[8:9]
	;; [unrolled: 1-line block ×15, first 2 shown]
	v_add_f64_e32 v[0:1], v[0:1], v[143:144]
	v_add_f64_e32 v[2:3], v[2:3], v[145:146]
	s_delay_alu instid0(VALU_DEP_2) | instskip(NEXT) | instid1(VALU_DEP_2)
	v_add_f64_e32 v[0:1], v[0:1], v[139:140]
	v_add_f64_e32 v[2:3], v[2:3], v[141:142]
	s_delay_alu instid0(VALU_DEP_2) | instskip(NEXT) | instid1(VALU_DEP_2)
	v_add_f64_e32 v[0:1], v[0:1], v[135:136]
	v_add_f64_e32 v[2:3], v[2:3], v[137:138]
	v_add_f64_e64 v[135:136], v[135:136], -v[151:152]
	v_add_f64_e32 v[137:138], v[139:140], v[155:156]
	v_add_f64_e64 v[139:140], v[139:140], -v[155:156]
	v_add_f64_e32 v[0:1], v[0:1], v[151:152]
	v_add_f64_e32 v[2:3], v[2:3], v[153:154]
	s_delay_alu instid0(VALU_DEP_2) | instskip(NEXT) | instid1(VALU_DEP_2)
	v_add_f64_e32 v[0:1], v[0:1], v[155:156]
	v_add_f64_e32 v[2:3], v[2:3], v[157:158]
	ds_load_b128 v[151:154], v186 offset:15488
	ds_load_b128 v[155:158], v186 offset:17424
	s_wait_dscnt 0x1
	v_add_f64_e32 v[141:142], v[143:144], v[151:152]
	v_add_f64_e64 v[143:144], v[143:144], -v[151:152]
	s_wait_dscnt 0x0
	v_add_f64_e64 v[16:17], v[149:150], -v[157:158]
	v_add_f64_e32 v[18:19], v[149:150], v[157:158]
	v_add_f64_e32 v[12:13], v[145:146], v[153:154]
	v_add_f64_e64 v[14:15], v[145:146], -v[153:154]
	v_add_f64_e32 v[145:146], v[147:148], v[155:156]
	v_add_f64_e64 v[147:148], v[147:148], -v[155:156]
	v_add_f64_e32 v[0:1], v[0:1], v[151:152]
	v_add_f64_e32 v[2:3], v[2:3], v[153:154]
	ds_load_b128 v[149:152], v186 offset:19360
	global_wb scope:SCOPE_SE
	s_wait_dscnt 0x0
	s_barrier_signal -1
	s_barrier_wait -1
	global_inv scope:SCOPE_SE
	v_add_f64_e64 v[20:21], v[130:131], -v[151:152]
	v_add_f64_e32 v[22:23], v[130:131], v[151:152]
	v_add_f64_e32 v[24:25], v[128:129], v[149:150]
	v_add_f64_e64 v[26:27], v[128:129], -v[149:150]
	v_mul_f64_e32 v[181:182], s[28:29], v[16:17]
	v_mul_f64_e32 v[183:184], s[16:17], v[18:19]
	;; [unrolled: 1-line block ×12, first 2 shown]
	v_add_f64_e32 v[0:1], v[0:1], v[155:156]
	v_add_f64_e32 v[2:3], v[2:3], v[157:158]
	v_mul_f64_e32 v[214:215], s[22:23], v[14:15]
	v_mul_f64_e32 v[216:217], s[18:19], v[12:13]
	;; [unrolled: 1-line block ×10, first 2 shown]
	v_add_f64_e32 v[128:129], v[0:1], v[149:150]
	v_add_f64_e32 v[130:131], v[2:3], v[151:152]
	v_mul_f64_e32 v[0:1], s[22:23], v[20:21]
	v_mul_f64_e32 v[2:3], s[28:29], v[20:21]
	;; [unrolled: 1-line block ×3, first 2 shown]
	v_fma_f64 v[36:37], v[24:25], s[14:15], v[28:29]
	v_fma_f64 v[28:29], v[24:25], s[14:15], -v[28:29]
	v_fma_f64 v[38:39], v[24:25], s[12:13], v[30:31]
	v_fma_f64 v[30:31], v[24:25], s[12:13], -v[30:31]
	v_fma_f64 v[149:150], v[26:27], s[38:39], v[42:43]
	v_fma_f64 v[42:43], v[26:27], s[28:29], v[42:43]
	;; [unrolled: 1-line block ×7, first 2 shown]
	v_fma_f64 v[0:1], v[24:25], s[18:19], -v[0:1]
	v_fma_f64 v[34:35], v[24:25], s[16:17], v[2:3]
	v_fma_f64 v[2:3], v[24:25], s[16:17], -v[2:3]
	v_fma_f64 v[40:41], v[24:25], s[2:3], v[20:21]
	v_fma_f64 v[20:21], v[24:25], s[2:3], -v[20:21]
	v_mul_f64_e32 v[24:25], s[18:19], v[22:23]
	v_mul_f64_e32 v[22:23], s[2:3], v[22:23]
	v_add_f64_e32 v[36:37], v[124:125], v[36:37]
	v_add_f64_e32 v[28:29], v[124:125], v[28:29]
	;; [unrolled: 1-line block ×14, first 2 shown]
	v_fma_f64 v[57:58], v[26:27], s[36:37], v[24:25]
	v_fma_f64 v[24:25], v[26:27], s[22:23], v[24:25]
	;; [unrolled: 1-line block ×4, first 2 shown]
	v_add_f64_e32 v[26:27], v[124:125], v[32:33]
	v_fma_f64 v[124:125], v[145:146], s[16:17], -v[181:182]
	v_add_f64_e32 v[32:33], v[126:127], v[57:58]
	v_add_f64_e32 v[24:25], v[126:127], v[24:25]
	;; [unrolled: 1-line block ×6, first 2 shown]
	v_fma_f64 v[124:125], v[147:148], s[28:29], v[183:184]
	v_fma_f64 v[155:156], v[141:142], s[16:17], v[175:176]
	s_delay_alu instid0(VALU_DEP_2) | instskip(SKIP_1) | instid1(VALU_DEP_1)
	v_add_f64_e32 v[24:25], v[124:125], v[24:25]
	v_fma_f64 v[124:125], v[141:142], s[14:15], -v[187:188]
	v_add_f64_e32 v[0:1], v[124:125], v[0:1]
	v_fma_f64 v[124:125], v[143:144], s[26:27], v[190:191]
	s_delay_alu instid0(VALU_DEP_1) | instskip(SKIP_1) | instid1(VALU_DEP_1)
	v_add_f64_e32 v[24:25], v[124:125], v[24:25]
	v_fma_f64 v[124:125], v[137:138], s[12:13], -v[192:193]
	v_add_f64_e32 v[0:1], v[124:125], v[0:1]
	v_fma_f64 v[124:125], v[139:140], s[20:21], v[194:195]
	s_delay_alu instid0(VALU_DEP_1) | instskip(SKIP_1) | instid1(VALU_DEP_1)
	v_add_f64_e32 v[24:25], v[124:125], v[24:25]
	v_fma_f64 v[124:125], v[133:134], s[2:3], -v[196:197]
	v_add_f64_e32 v[124:125], v[124:125], v[0:1]
	v_mul_f64_e32 v[0:1], s[2:3], v[4:5]
	s_delay_alu instid0(VALU_DEP_1) | instskip(SKIP_1) | instid1(VALU_DEP_2)
	v_fma_f64 v[126:127], v[135:136], s[24:25], v[0:1]
	v_fma_f64 v[0:1], v[135:136], s[30:31], v[0:1]
	v_add_f64_e32 v[126:127], v[126:127], v[24:25]
	v_mul_f64_e32 v[24:25], s[20:21], v[16:17]
	s_delay_alu instid0(VALU_DEP_1) | instskip(NEXT) | instid1(VALU_DEP_1)
	v_fma_f64 v[149:150], v[145:146], s[12:13], v[24:25]
	v_add_f64_e32 v[34:35], v[149:150], v[34:35]
	v_fma_f64 v[149:150], v[147:148], s[8:9], v[177:178]
	s_delay_alu instid0(VALU_DEP_1) | instskip(SKIP_1) | instid1(VALU_DEP_1)
	v_add_f64_e32 v[57:58], v[149:150], v[57:58]
	v_fma_f64 v[149:150], v[141:142], s[2:3], v[179:180]
	v_add_f64_e32 v[34:35], v[149:150], v[34:35]
	v_fma_f64 v[149:150], v[143:144], s[24:25], v[198:199]
	s_delay_alu instid0(VALU_DEP_1) | instskip(SKIP_1) | instid1(VALU_DEP_1)
	v_add_f64_e32 v[57:58], v[149:150], v[57:58]
	;; [unrolled: 5-line block ×3, first 2 shown]
	v_fma_f64 v[149:150], v[133:134], s[18:19], v[204:205]
	v_add_f64_e32 v[149:150], v[149:150], v[34:35]
	v_mul_f64_e32 v[34:35], s[18:19], v[4:5]
	s_delay_alu instid0(VALU_DEP_1) | instskip(NEXT) | instid1(VALU_DEP_1)
	v_fma_f64 v[151:152], v[135:136], s[22:23], v[34:35]
	v_add_f64_e32 v[151:152], v[151:152], v[57:58]
	v_mul_f64_e32 v[57:58], s[30:31], v[16:17]
	v_mul_f64_e32 v[16:17], s[36:37], v[16:17]
	s_delay_alu instid0(VALU_DEP_2) | instskip(NEXT) | instid1(VALU_DEP_1)
	v_fma_f64 v[153:154], v[145:146], s[2:3], v[57:58]
	v_add_f64_e32 v[36:37], v[153:154], v[36:37]
	v_fma_f64 v[153:154], v[147:148], s[24:25], v[173:174]
	s_delay_alu instid0(VALU_DEP_2) | instskip(NEXT) | instid1(VALU_DEP_2)
	v_add_f64_e32 v[36:37], v[155:156], v[36:37]
	v_add_f64_e32 v[153:154], v[153:154], v[157:158]
	v_fma_f64 v[155:156], v[143:144], s[28:29], v[206:207]
	s_delay_alu instid0(VALU_DEP_1) | instskip(SKIP_1) | instid1(VALU_DEP_1)
	v_add_f64_e32 v[153:154], v[155:156], v[153:154]
	v_fma_f64 v[155:156], v[137:138], s[18:19], v[208:209]
	v_add_f64_e32 v[36:37], v[155:156], v[36:37]
	v_fma_f64 v[155:156], v[139:140], s[36:37], v[210:211]
	s_delay_alu instid0(VALU_DEP_1) | instskip(SKIP_1) | instid1(VALU_DEP_1)
	v_add_f64_e32 v[155:156], v[155:156], v[153:154]
	v_fma_f64 v[153:154], v[133:134], s[12:13], v[212:213]
	v_add_f64_e32 v[153:154], v[153:154], v[36:37]
	v_mul_f64_e32 v[36:37], s[12:13], v[4:5]
	s_delay_alu instid0(VALU_DEP_1) | instskip(NEXT) | instid1(VALU_DEP_1)
	v_fma_f64 v[157:158], v[135:136], s[8:9], v[36:37]
	v_add_f64_e32 v[155:156], v[157:158], v[155:156]
	v_fma_f64 v[157:158], v[145:146], s[14:15], v[169:170]
	s_delay_alu instid0(VALU_DEP_1) | instskip(SKIP_1) | instid1(VALU_DEP_1)
	v_add_f64_e32 v[38:39], v[157:158], v[38:39]
	v_fma_f64 v[157:158], v[147:148], s[26:27], v[171:172]
	v_add_f64_e32 v[157:158], v[157:158], v[159:160]
	v_fma_f64 v[159:160], v[141:142], s[18:19], v[214:215]
	s_delay_alu instid0(VALU_DEP_1) | instskip(SKIP_1) | instid1(VALU_DEP_1)
	v_add_f64_e32 v[38:39], v[159:160], v[38:39]
	;; [unrolled: 5-line block ×3, first 2 shown]
	v_fma_f64 v[159:160], v[139:140], s[30:31], v[220:221]
	v_add_f64_e32 v[159:160], v[159:160], v[157:158]
	v_fma_f64 v[157:158], v[133:134], s[16:17], v[222:223]
	s_delay_alu instid0(VALU_DEP_1) | instskip(SKIP_2) | instid1(VALU_DEP_2)
	v_add_f64_e32 v[157:158], v[157:158], v[38:39]
	v_mul_f64_e32 v[38:39], s[16:17], v[4:5]
	v_mul_f64_e32 v[4:5], s[14:15], v[4:5]
	v_fma_f64 v[163:164], v[135:136], s[28:29], v[38:39]
	s_delay_alu instid0(VALU_DEP_1) | instskip(SKIP_2) | instid1(VALU_DEP_2)
	v_add_f64_e32 v[159:160], v[163:164], v[159:160]
	v_fma_f64 v[163:164], v[145:146], s[18:19], v[16:17]
	v_fma_f64 v[16:17], v[145:146], s[18:19], -v[16:17]
	v_add_f64_e32 v[40:41], v[163:164], v[40:41]
	v_fma_f64 v[163:164], v[147:148], s[22:23], v[18:19]
	v_fma_f64 v[18:19], v[147:148], s[36:37], v[18:19]
	s_delay_alu instid0(VALU_DEP_4) | instskip(NEXT) | instid1(VALU_DEP_3)
	v_add_f64_e32 v[16:17], v[16:17], v[20:21]
	v_add_f64_e32 v[161:162], v[163:164], v[161:162]
	v_fma_f64 v[163:164], v[141:142], s[12:13], v[14:15]
	s_delay_alu instid0(VALU_DEP_4) | instskip(SKIP_1) | instid1(VALU_DEP_3)
	v_add_f64_e32 v[18:19], v[18:19], v[22:23]
	v_fma_f64 v[14:15], v[141:142], s[12:13], -v[14:15]
	v_add_f64_e32 v[40:41], v[163:164], v[40:41]
	v_fma_f64 v[163:164], v[143:144], s[8:9], v[12:13]
	v_fma_f64 v[12:13], v[143:144], s[20:21], v[12:13]
	s_delay_alu instid0(VALU_DEP_4) | instskip(NEXT) | instid1(VALU_DEP_3)
	v_add_f64_e32 v[14:15], v[14:15], v[16:17]
	v_add_f64_e32 v[161:162], v[163:164], v[161:162]
	v_fma_f64 v[163:164], v[137:138], s[16:17], v[10:11]
	s_delay_alu instid0(VALU_DEP_4) | instskip(SKIP_1) | instid1(VALU_DEP_3)
	v_add_f64_e32 v[12:13], v[12:13], v[18:19]
	v_fma_f64 v[10:11], v[137:138], s[16:17], -v[10:11]
	v_add_f64_e32 v[40:41], v[163:164], v[40:41]
	v_fma_f64 v[163:164], v[139:140], s[28:29], v[8:9]
	v_fma_f64 v[8:9], v[139:140], s[38:39], v[8:9]
	s_delay_alu instid0(VALU_DEP_4) | instskip(NEXT) | instid1(VALU_DEP_3)
	v_add_f64_e32 v[10:11], v[10:11], v[14:15]
	v_add_f64_e32 v[163:164], v[163:164], v[161:162]
	v_fma_f64 v[161:162], v[133:134], s[14:15], v[6:7]
	s_delay_alu instid0(VALU_DEP_4) | instskip(SKIP_2) | instid1(VALU_DEP_4)
	v_add_f64_e32 v[8:9], v[8:9], v[12:13]
	v_fma_f64 v[6:7], v[133:134], s[14:15], -v[6:7]
	v_fma_f64 v[12:13], v[139:140], s[8:9], v[194:195]
	v_add_f64_e32 v[161:162], v[161:162], v[40:41]
	v_fma_f64 v[40:41], v[135:136], s[34:35], v[4:5]
	v_fma_f64 v[4:5], v[135:136], s[26:27], v[4:5]
	v_add_f64_e32 v[165:166], v[6:7], v[10:11]
	v_fma_f64 v[6:7], v[147:148], s[34:35], v[171:172]
	v_fma_f64 v[10:11], v[135:136], s[38:39], v[38:39]
	v_add_f64_e32 v[163:164], v[40:41], v[163:164]
	v_add_f64_e32 v[167:168], v[4:5], v[8:9]
	v_fma_f64 v[4:5], v[145:146], s[14:15], -v[169:170]
	v_fma_f64 v[8:9], v[141:142], s[18:19], -v[214:215]
	v_add_f64_e32 v[6:7], v[6:7], v[46:47]
	s_delay_alu instid0(VALU_DEP_3) | instskip(NEXT) | instid1(VALU_DEP_1)
	v_add_f64_e32 v[4:5], v[4:5], v[30:31]
	v_add_f64_e32 v[4:5], v[8:9], v[4:5]
	v_fma_f64 v[8:9], v[143:144], s[22:23], v[216:217]
	s_delay_alu instid0(VALU_DEP_1) | instskip(SKIP_1) | instid1(VALU_DEP_1)
	v_add_f64_e32 v[6:7], v[8:9], v[6:7]
	v_fma_f64 v[8:9], v[137:138], s[2:3], -v[218:219]
	v_add_f64_e32 v[4:5], v[8:9], v[4:5]
	v_fma_f64 v[8:9], v[139:140], s[24:25], v[220:221]
	s_delay_alu instid0(VALU_DEP_1) | instskip(SKIP_1) | instid1(VALU_DEP_2)
	v_add_f64_e32 v[6:7], v[8:9], v[6:7]
	v_fma_f64 v[8:9], v[133:134], s[16:17], -v[222:223]
	v_add_f64_e32 v[171:172], v[10:11], v[6:7]
	s_delay_alu instid0(VALU_DEP_2) | instskip(SKIP_4) | instid1(VALU_DEP_4)
	v_add_f64_e32 v[169:170], v[8:9], v[4:5]
	v_fma_f64 v[4:5], v[145:146], s[2:3], -v[57:58]
	v_fma_f64 v[6:7], v[147:148], s[30:31], v[173:174]
	v_fma_f64 v[8:9], v[141:142], s[16:17], -v[175:176]
	v_fma_f64 v[10:11], v[135:136], s[20:21], v[36:37]
	v_add_f64_e32 v[4:5], v[4:5], v[28:29]
	s_delay_alu instid0(VALU_DEP_4) | instskip(NEXT) | instid1(VALU_DEP_2)
	v_add_f64_e32 v[6:7], v[6:7], v[44:45]
	v_add_f64_e32 v[4:5], v[8:9], v[4:5]
	v_fma_f64 v[8:9], v[143:144], s[38:39], v[206:207]
	s_delay_alu instid0(VALU_DEP_1) | instskip(SKIP_1) | instid1(VALU_DEP_1)
	v_add_f64_e32 v[6:7], v[8:9], v[6:7]
	v_fma_f64 v[8:9], v[137:138], s[18:19], -v[208:209]
	v_add_f64_e32 v[4:5], v[8:9], v[4:5]
	v_fma_f64 v[8:9], v[139:140], s[22:23], v[210:211]
	s_delay_alu instid0(VALU_DEP_1) | instskip(SKIP_1) | instid1(VALU_DEP_2)
	v_add_f64_e32 v[6:7], v[8:9], v[6:7]
	v_fma_f64 v[8:9], v[133:134], s[12:13], -v[212:213]
	v_add_f64_e32 v[175:176], v[10:11], v[6:7]
	s_delay_alu instid0(VALU_DEP_2) | instskip(SKIP_4) | instid1(VALU_DEP_4)
	v_add_f64_e32 v[173:174], v[8:9], v[4:5]
	v_fma_f64 v[4:5], v[145:146], s[12:13], -v[24:25]
	v_fma_f64 v[6:7], v[141:142], s[2:3], -v[179:180]
	v_fma_f64 v[8:9], v[135:136], s[36:37], v[34:35]
	v_fma_f64 v[10:11], v[137:138], s[12:13], v[192:193]
	v_add_f64_e32 v[2:3], v[4:5], v[2:3]
	v_fma_f64 v[4:5], v[147:148], s[20:21], v[177:178]
	s_delay_alu instid0(VALU_DEP_2) | instskip(NEXT) | instid1(VALU_DEP_2)
	v_add_f64_e32 v[2:3], v[6:7], v[2:3]
	v_add_f64_e32 v[4:5], v[4:5], v[42:43]
	v_fma_f64 v[6:7], v[143:144], s[30:31], v[198:199]
	s_delay_alu instid0(VALU_DEP_1) | instskip(SKIP_1) | instid1(VALU_DEP_1)
	v_add_f64_e32 v[4:5], v[6:7], v[4:5]
	v_fma_f64 v[6:7], v[137:138], s[14:15], -v[200:201]
	v_add_f64_e32 v[2:3], v[6:7], v[2:3]
	v_fma_f64 v[6:7], v[139:140], s[34:35], v[202:203]
	s_delay_alu instid0(VALU_DEP_1) | instskip(SKIP_1) | instid1(VALU_DEP_2)
	v_add_f64_e32 v[4:5], v[6:7], v[4:5]
	v_fma_f64 v[6:7], v[133:134], s[18:19], -v[204:205]
	v_add_f64_e32 v[179:180], v[8:9], v[4:5]
	s_delay_alu instid0(VALU_DEP_2) | instskip(SKIP_4) | instid1(VALU_DEP_4)
	v_add_f64_e32 v[177:178], v[6:7], v[2:3]
	v_fma_f64 v[2:3], v[145:146], s[16:17], v[181:182]
	v_fma_f64 v[4:5], v[147:148], s[38:39], v[183:184]
	;; [unrolled: 1-line block ×4, first 2 shown]
	v_add_f64_e32 v[2:3], v[2:3], v[26:27]
	s_delay_alu instid0(VALU_DEP_4) | instskip(NEXT) | instid1(VALU_DEP_2)
	v_add_f64_e32 v[4:5], v[4:5], v[32:33]
	v_add_f64_e32 v[2:3], v[6:7], v[2:3]
	s_delay_alu instid0(VALU_DEP_2) | instskip(SKIP_1) | instid1(VALU_DEP_3)
	v_add_f64_e32 v[4:5], v[8:9], v[4:5]
	v_fma_f64 v[6:7], v[133:134], s[2:3], v[196:197]
	v_add_f64_e32 v[2:3], v[10:11], v[2:3]
	s_delay_alu instid0(VALU_DEP_3) | instskip(NEXT) | instid1(VALU_DEP_2)
	v_add_f64_e32 v[4:5], v[12:13], v[4:5]
	v_add_f64_e32 v[133:134], v[6:7], v[2:3]
	s_delay_alu instid0(VALU_DEP_2)
	v_add_f64_e32 v[135:136], v[0:1], v[4:5]
	ds_store_b128 v56, v[149:152] offset:32
	ds_store_b128 v56, v[153:156] offset:48
	;; [unrolled: 1-line block ×10, first 2 shown]
	ds_store_b128 v56, v[128:131]
	global_wb scope:SCOPE_SE
	s_wait_dscnt 0x0
	s_barrier_signal -1
	s_barrier_wait -1
	global_inv scope:SCOPE_SE
	ds_load_b128 v[124:127], v186 offset:1936
	ds_load_b128 v[128:131], v186
	s_wait_dscnt 0x1
	v_mul_f64_e32 v[0:1], v[50:51], v[126:127]
	v_mul_f64_e32 v[2:3], v[50:51], v[124:125]
	s_delay_alu instid0(VALU_DEP_2) | instskip(NEXT) | instid1(VALU_DEP_2)
	v_fma_f64 v[0:1], v[48:49], v[124:125], v[0:1]
	v_fma_f64 v[2:3], v[48:49], v[126:127], -v[2:3]
	ds_load_b128 v[124:127], v186 offset:19360
	s_wait_dscnt 0x0
	v_mul_f64_e32 v[4:5], v[106:107], v[124:125]
	s_delay_alu instid0(VALU_DEP_1) | instskip(SKIP_1) | instid1(VALU_DEP_1)
	v_fma_f64 v[48:49], v[104:105], v[126:127], -v[4:5]
	v_mul_f64_e32 v[4:5], v[106:107], v[126:127]
	v_fma_f64 v[50:51], v[104:105], v[124:125], v[4:5]
	ds_load_b128 v[124:127], v186 offset:3872
	ds_load_b128 v[133:136], v186 offset:5808
	scratch_load_b128 v[6:9], off, off offset:200 th:TH_LOAD_LU ; 16-byte Folded Reload
	v_add_f64_e32 v[14:15], v[0:1], v[50:51]
	v_add_f64_e64 v[34:35], v[0:1], -v[50:51]
	s_wait_loadcnt_dscnt 0x1
	v_mul_f64_e32 v[4:5], v[8:9], v[124:125]
	s_delay_alu instid0(VALU_DEP_1) | instskip(SKIP_1) | instid1(VALU_DEP_1)
	v_fma_f64 v[104:105], v[6:7], v[126:127], -v[4:5]
	v_mul_f64_e32 v[4:5], v[8:9], v[126:127]
	v_fma_f64 v[106:107], v[6:7], v[124:125], v[4:5]
	ds_load_b128 v[124:127], v186 offset:17424
	ds_load_b128 v[137:140], v186 offset:15488
	s_wait_dscnt 0x1
	v_mul_f64_e32 v[4:5], v[98:99], v[124:125]
	s_delay_alu instid0(VALU_DEP_1) | instskip(SKIP_1) | instid1(VALU_DEP_1)
	v_fma_f64 v[56:57], v[96:97], v[126:127], -v[4:5]
	v_mul_f64_e32 v[4:5], v[98:99], v[126:127]
	v_fma_f64 v[58:59], v[96:97], v[124:125], v[4:5]
	v_mul_f64_e32 v[4:5], v[114:115], v[133:134]
	s_delay_alu instid0(VALU_DEP_1) | instskip(SKIP_1) | instid1(VALU_DEP_1)
	v_fma_f64 v[124:125], v[112:113], v[135:136], -v[4:5]
	v_mul_f64_e32 v[4:5], v[114:115], v[135:136]
	v_fma_f64 v[112:113], v[112:113], v[133:134], v[4:5]
	s_wait_dscnt 0x0
	v_mul_f64_e32 v[4:5], v[118:119], v[137:138]
	s_delay_alu instid0(VALU_DEP_1) | instskip(SKIP_1) | instid1(VALU_DEP_2)
	v_fma_f64 v[96:97], v[116:117], v[139:140], -v[4:5]
	v_mul_f64_e32 v[4:5], v[118:119], v[139:140]
	v_add_f64_e64 v[145:146], v[124:125], -v[96:97]
	s_delay_alu instid0(VALU_DEP_2)
	v_fma_f64 v[98:99], v[116:117], v[137:138], v[4:5]
	ds_load_b128 v[116:119], v186 offset:7744
	ds_load_b128 v[133:136], v186 offset:9680
	v_add_f64_e32 v[147:148], v[124:125], v[96:97]
	s_wait_dscnt 0x1
	v_mul_f64_e32 v[4:5], v[102:103], v[118:119]
	v_mul_f64_e32 v[167:168], s[26:27], v[145:146]
	v_add_f64_e32 v[165:166], v[112:113], v[98:99]
	v_add_f64_e64 v[169:170], v[112:113], -v[98:99]
	v_mul_f64_e32 v[171:172], s[14:15], v[147:148]
	v_mul_f64_e32 v[163:164], s[30:31], v[145:146]
	;; [unrolled: 1-line block ×8, first 2 shown]
	v_fma_f64 v[114:115], v[100:101], v[116:117], v[4:5]
	v_mul_f64_e32 v[4:5], v[102:103], v[116:117]
	s_delay_alu instid0(VALU_DEP_1) | instskip(SKIP_2) | instid1(VALU_DEP_1)
	v_fma_f64 v[100:101], v[100:101], v[118:119], -v[4:5]
	s_wait_dscnt 0x0
	v_mul_f64_e32 v[4:5], v[122:123], v[135:136]
	v_fma_f64 v[102:103], v[120:121], v[133:134], v[4:5]
	v_mul_f64_e32 v[4:5], v[122:123], v[133:134]
	s_delay_alu instid0(VALU_DEP_1)
	v_fma_f64 v[116:117], v[120:121], v[135:136], -v[4:5]
	ds_load_b128 v[120:123], v186 offset:11616
	ds_load_b128 v[133:136], v186 offset:13552
	global_wb scope:SCOPE_SE
	s_wait_dscnt 0x0
	s_barrier_signal -1
	s_barrier_wait -1
	global_inv scope:SCOPE_SE
	v_mul_f64_e32 v[4:5], v[110:111], v[122:123]
	s_delay_alu instid0(VALU_DEP_1) | instskip(SKIP_2) | instid1(VALU_DEP_3)
	v_fma_f64 v[118:119], v[108:109], v[120:121], v[4:5]
	v_mul_f64_e32 v[4:5], v[110:111], v[120:121]
	v_add_f64_e32 v[120:121], v[130:131], v[2:3]
	v_add_f64_e32 v[181:182], v[102:103], v[118:119]
	s_delay_alu instid0(VALU_DEP_3) | instskip(SKIP_3) | instid1(VALU_DEP_4)
	v_fma_f64 v[108:109], v[108:109], v[122:123], -v[4:5]
	v_mul_f64_e32 v[4:5], v[94:95], v[135:136]
	v_add_f64_e64 v[122:123], v[106:107], -v[58:59]
	v_add_f64_e64 v[187:188], v[102:103], -v[118:119]
	;; [unrolled: 1-line block ×3, first 2 shown]
	s_delay_alu instid0(VALU_DEP_4) | instskip(SKIP_2) | instid1(VALU_DEP_4)
	v_fma_f64 v[110:111], v[92:93], v[133:134], v[4:5]
	v_mul_f64_e32 v[4:5], v[94:95], v[133:134]
	v_add_f64_e32 v[94:95], v[128:129], v[0:1]
	v_mul_f64_e32 v[183:184], s[24:25], v[153:154]
	s_delay_alu instid0(VALU_DEP_4) | instskip(NEXT) | instid1(VALU_DEP_4)
	v_add_f64_e32 v[173:174], v[114:115], v[110:111]
	v_fma_f64 v[92:93], v[92:93], v[135:136], -v[4:5]
	v_add_f64_e64 v[4:5], v[2:3], -v[48:49]
	v_add_f64_e64 v[177:178], v[114:115], -v[110:111]
	v_mul_f64_e32 v[198:199], s[36:37], v[153:154]
	v_mul_f64_e32 v[206:207], s[20:21], v[153:154]
	v_mul_f64_e32 v[216:217], s[38:39], v[153:154]
	v_mul_f64_e32 v[153:154], s[26:27], v[153:154]
	v_add_f64_e64 v[149:150], v[100:101], -v[92:93]
	v_mul_f64_e32 v[6:7], s[22:23], v[4:5]
	v_mul_f64_e32 v[8:9], s[28:29], v[4:5]
	;; [unrolled: 1-line block ×5, first 2 shown]
	v_add_f64_e32 v[151:152], v[100:101], v[92:93]
	v_mul_f64_e32 v[175:176], s[20:21], v[149:150]
	v_fma_f64 v[16:17], v[14:15], s[18:19], v[6:7]
	v_fma_f64 v[6:7], v[14:15], s[18:19], -v[6:7]
	v_fma_f64 v[18:19], v[14:15], s[16:17], v[8:9]
	v_fma_f64 v[8:9], v[14:15], s[16:17], -v[8:9]
	;; [unrolled: 2-line block ×5, first 2 shown]
	v_add_f64_e32 v[14:15], v[2:3], v[48:49]
	v_mul_f64_e32 v[179:180], s[12:13], v[151:152]
	v_mul_f64_e32 v[194:195], s[34:35], v[149:150]
	;; [unrolled: 1-line block ×9, first 2 shown]
	v_add_f64_e32 v[0:1], v[128:129], v[16:17]
	v_add_f64_e32 v[6:7], v[128:129], v[6:7]
	;; [unrolled: 1-line block ×10, first 2 shown]
	v_mul_f64_e32 v[30:31], s[14:15], v[14:15]
	v_mul_f64_e32 v[26:27], s[18:19], v[14:15]
	;; [unrolled: 1-line block ×5, first 2 shown]
	v_fma_f64 v[40:41], v[34:35], s[34:35], v[30:31]
	v_fma_f64 v[36:37], v[34:35], s[36:37], v[26:27]
	;; [unrolled: 1-line block ×10, first 2 shown]
	v_add_f64_e32 v[34:35], v[130:131], v[40:41]
	v_add_f64_e64 v[40:41], v[104:105], -v[56:57]
	v_add_f64_e32 v[2:3], v[130:131], v[36:37]
	v_add_f64_e32 v[16:17], v[130:131], v[26:27]
	;; [unrolled: 1-line block ×10, first 2 shown]
	v_mul_f64_e32 v[44:45], s[28:29], v[40:41]
	s_delay_alu instid0(VALU_DEP_1) | instskip(NEXT) | instid1(VALU_DEP_1)
	v_fma_f64 v[46:47], v[42:43], s[16:17], -v[44:45]
	v_add_f64_e32 v[6:7], v[46:47], v[6:7]
	v_add_f64_e32 v[46:47], v[104:105], v[56:57]
	s_delay_alu instid0(VALU_DEP_1) | instskip(SKIP_3) | instid1(VALU_DEP_4)
	v_mul_f64_e32 v[130:131], s[16:17], v[46:47]
	v_mul_f64_e32 v[161:162], s[12:13], v[46:47]
	;; [unrolled: 1-line block ×4, first 2 shown]
	v_fma_f64 v[126:127], v[122:123], s[28:29], v[130:131]
	s_delay_alu instid0(VALU_DEP_1) | instskip(SKIP_1) | instid1(VALU_DEP_1)
	v_add_f64_e32 v[16:17], v[126:127], v[16:17]
	v_fma_f64 v[126:127], v[165:166], s[14:15], -v[167:168]
	v_add_f64_e32 v[6:7], v[126:127], v[6:7]
	v_fma_f64 v[126:127], v[169:170], s[26:27], v[171:172]
	s_delay_alu instid0(VALU_DEP_1) | instskip(SKIP_1) | instid1(VALU_DEP_1)
	v_add_f64_e32 v[16:17], v[126:127], v[16:17]
	v_fma_f64 v[126:127], v[173:174], s[12:13], -v[175:176]
	v_add_f64_e32 v[6:7], v[126:127], v[6:7]
	;; [unrolled: 5-line block ×3, first 2 shown]
	v_add_f64_e32 v[6:7], v[116:117], v[108:109]
	s_delay_alu instid0(VALU_DEP_1) | instskip(NEXT) | instid1(VALU_DEP_1)
	v_mul_f64_e32 v[190:191], s[2:3], v[6:7]
	v_fma_f64 v[128:129], v[187:188], s[24:25], v[190:191]
	s_delay_alu instid0(VALU_DEP_1) | instskip(SKIP_1) | instid1(VALU_DEP_1)
	v_add_f64_e32 v[128:129], v[128:129], v[16:17]
	v_mul_f64_e32 v[16:17], s[20:21], v[40:41]
	v_fma_f64 v[132:133], v[42:43], s[12:13], v[16:17]
	s_delay_alu instid0(VALU_DEP_1) | instskip(SKIP_1) | instid1(VALU_DEP_1)
	v_add_f64_e32 v[18:19], v[132:133], v[18:19]
	v_fma_f64 v[132:133], v[122:123], s[8:9], v[161:162]
	v_add_f64_e32 v[26:27], v[132:133], v[26:27]
	v_fma_f64 v[132:133], v[165:166], s[2:3], v[163:164]
	s_delay_alu instid0(VALU_DEP_1) | instskip(SKIP_1) | instid1(VALU_DEP_1)
	v_add_f64_e32 v[18:19], v[132:133], v[18:19]
	v_fma_f64 v[132:133], v[169:170], s[24:25], v[192:193]
	v_add_f64_e32 v[26:27], v[132:133], v[26:27]
	v_fma_f64 v[132:133], v[173:174], s[14:15], v[194:195]
	s_delay_alu instid0(VALU_DEP_1) | instskip(SKIP_1) | instid1(VALU_DEP_1)
	v_add_f64_e32 v[18:19], v[132:133], v[18:19]
	v_fma_f64 v[132:133], v[177:178], s[26:27], v[196:197]
	v_add_f64_e32 v[26:27], v[132:133], v[26:27]
	v_fma_f64 v[132:133], v[181:182], s[18:19], v[198:199]
	s_delay_alu instid0(VALU_DEP_1) | instskip(SKIP_1) | instid1(VALU_DEP_1)
	v_add_f64_e32 v[133:134], v[132:133], v[18:19]
	v_mul_f64_e32 v[18:19], s[18:19], v[6:7]
	v_fma_f64 v[135:136], v[187:188], s[22:23], v[18:19]
	s_delay_alu instid0(VALU_DEP_1) | instskip(SKIP_1) | instid1(VALU_DEP_1)
	v_add_f64_e32 v[135:136], v[135:136], v[26:27]
	v_mul_f64_e32 v[26:27], s[30:31], v[40:41]
	v_fma_f64 v[137:138], v[42:43], s[2:3], v[26:27]
	s_delay_alu instid0(VALU_DEP_1) | instskip(SKIP_1) | instid1(VALU_DEP_1)
	v_add_f64_e32 v[20:21], v[137:138], v[20:21]
	v_fma_f64 v[137:138], v[122:123], s[24:25], v[157:158]
	v_add_f64_e32 v[34:35], v[137:138], v[34:35]
	v_fma_f64 v[137:138], v[165:166], s[16:17], v[159:160]
	s_delay_alu instid0(VALU_DEP_1) | instskip(SKIP_1) | instid1(VALU_DEP_1)
	v_add_f64_e32 v[20:21], v[137:138], v[20:21]
	v_fma_f64 v[137:138], v[169:170], s[28:29], v[200:201]
	v_add_f64_e32 v[34:35], v[137:138], v[34:35]
	;; [unrolled: 5-line block ×3, first 2 shown]
	v_fma_f64 v[137:138], v[181:182], s[12:13], v[206:207]
	s_delay_alu instid0(VALU_DEP_1) | instskip(SKIP_1) | instid1(VALU_DEP_1)
	v_add_f64_e32 v[137:138], v[137:138], v[20:21]
	v_mul_f64_e32 v[20:21], s[12:13], v[6:7]
	v_fma_f64 v[139:140], v[187:188], s[8:9], v[20:21]
	s_delay_alu instid0(VALU_DEP_1) | instskip(SKIP_1) | instid1(VALU_DEP_1)
	v_add_f64_e32 v[139:140], v[139:140], v[34:35]
	v_mul_f64_e32 v[34:35], s[34:35], v[40:41]
	v_fma_f64 v[141:142], v[42:43], s[14:15], v[34:35]
	s_delay_alu instid0(VALU_DEP_1) | instskip(SKIP_1) | instid1(VALU_DEP_1)
	v_add_f64_e32 v[22:23], v[141:142], v[22:23]
	v_fma_f64 v[141:142], v[122:123], s[26:27], v[155:156]
	v_add_f64_e32 v[36:37], v[141:142], v[36:37]
	v_fma_f64 v[141:142], v[165:166], s[18:19], v[208:209]
	s_delay_alu instid0(VALU_DEP_1) | instskip(SKIP_1) | instid1(VALU_DEP_1)
	v_add_f64_e32 v[22:23], v[141:142], v[22:23]
	v_fma_f64 v[141:142], v[169:170], s[36:37], v[210:211]
	v_add_f64_e32 v[36:37], v[141:142], v[36:37]
	;; [unrolled: 5-line block ×3, first 2 shown]
	v_fma_f64 v[141:142], v[181:182], s[16:17], v[216:217]
	s_delay_alu instid0(VALU_DEP_1) | instskip(SKIP_2) | instid1(VALU_DEP_2)
	v_add_f64_e32 v[141:142], v[141:142], v[22:23]
	v_mul_f64_e32 v[22:23], s[16:17], v[6:7]
	v_mul_f64_e32 v[6:7], s[14:15], v[6:7]
	v_fma_f64 v[143:144], v[187:188], s[28:29], v[22:23]
	s_delay_alu instid0(VALU_DEP_1) | instskip(SKIP_1) | instid1(VALU_DEP_1)
	v_add_f64_e32 v[143:144], v[143:144], v[36:37]
	v_mul_f64_e32 v[36:37], s[36:37], v[40:41]
	v_fma_f64 v[40:41], v[42:43], s[18:19], v[36:37]
	s_delay_alu instid0(VALU_DEP_1) | instskip(SKIP_1) | instid1(VALU_DEP_1)
	v_add_f64_e32 v[24:25], v[40:41], v[24:25]
	;; [unrolled: 4-line block ×4, first 2 shown]
	v_fma_f64 v[145:146], v[169:170], s[8:9], v[218:219]
	v_add_f64_e32 v[38:39], v[145:146], v[38:39]
	v_fma_f64 v[145:146], v[173:174], s[16:17], v[149:150]
	s_delay_alu instid0(VALU_DEP_1) | instskip(SKIP_1) | instid1(VALU_DEP_1)
	v_add_f64_e32 v[24:25], v[145:146], v[24:25]
	v_fma_f64 v[145:146], v[177:178], s[28:29], v[151:152]
	v_add_f64_e32 v[38:39], v[145:146], v[38:39]
	v_fma_f64 v[145:146], v[181:182], s[14:15], v[153:154]
	s_delay_alu instid0(VALU_DEP_1) | instskip(SKIP_2) | instid1(VALU_DEP_2)
	v_add_f64_e32 v[145:146], v[145:146], v[24:25]
	v_fma_f64 v[24:25], v[187:188], s[34:35], v[6:7]
	v_fma_f64 v[6:7], v[187:188], s[26:27], v[6:7]
	v_add_f64_e32 v[147:148], v[24:25], v[38:39]
	v_fma_f64 v[24:25], v[42:43], s[18:19], -v[36:37]
	s_delay_alu instid0(VALU_DEP_1) | instskip(SKIP_1) | instid1(VALU_DEP_1)
	v_add_f64_e32 v[4:5], v[24:25], v[4:5]
	v_fma_f64 v[24:25], v[122:123], s[36:37], v[40:41]
	v_add_f64_e32 v[14:15], v[24:25], v[14:15]
	v_fma_f64 v[24:25], v[165:166], s[12:13], -v[46:47]
	s_delay_alu instid0(VALU_DEP_1) | instskip(SKIP_1) | instid1(VALU_DEP_1)
	v_add_f64_e32 v[4:5], v[24:25], v[4:5]
	;; [unrolled: 5-line block ×3, first 2 shown]
	v_fma_f64 v[24:25], v[177:178], s[38:39], v[151:152]
	v_add_f64_e32 v[14:15], v[24:25], v[14:15]
	v_fma_f64 v[24:25], v[181:182], s[14:15], -v[153:154]
	s_delay_alu instid0(VALU_DEP_2) | instskip(NEXT) | instid1(VALU_DEP_2)
	v_add_f64_e32 v[151:152], v[6:7], v[14:15]
	v_add_f64_e32 v[149:150], v[24:25], v[4:5]
	v_fma_f64 v[4:5], v[42:43], s[14:15], -v[34:35]
	v_fma_f64 v[6:7], v[122:123], s[34:35], v[155:156]
	v_fma_f64 v[14:15], v[187:188], s[38:39], v[22:23]
	s_delay_alu instid0(VALU_DEP_3) | instskip(SKIP_1) | instid1(VALU_DEP_4)
	v_add_f64_e32 v[4:5], v[4:5], v[12:13]
	v_fma_f64 v[12:13], v[165:166], s[18:19], -v[208:209]
	v_add_f64_e32 v[6:7], v[6:7], v[32:33]
	s_delay_alu instid0(VALU_DEP_2) | instskip(SKIP_1) | instid1(VALU_DEP_1)
	v_add_f64_e32 v[4:5], v[12:13], v[4:5]
	v_fma_f64 v[12:13], v[169:170], s[22:23], v[210:211]
	v_add_f64_e32 v[6:7], v[12:13], v[6:7]
	v_fma_f64 v[12:13], v[173:174], s[2:3], -v[212:213]
	s_delay_alu instid0(VALU_DEP_1) | instskip(SKIP_1) | instid1(VALU_DEP_1)
	v_add_f64_e32 v[4:5], v[12:13], v[4:5]
	v_fma_f64 v[12:13], v[177:178], s[24:25], v[214:215]
	v_add_f64_e32 v[6:7], v[12:13], v[6:7]
	v_fma_f64 v[12:13], v[181:182], s[16:17], -v[216:217]
	s_delay_alu instid0(VALU_DEP_2) | instskip(NEXT) | instid1(VALU_DEP_2)
	v_add_f64_e32 v[155:156], v[14:15], v[6:7]
	v_add_f64_e32 v[153:154], v[12:13], v[4:5]
	v_fma_f64 v[4:5], v[42:43], s[2:3], -v[26:27]
	v_fma_f64 v[6:7], v[122:123], s[30:31], v[157:158]
	v_fma_f64 v[12:13], v[187:188], s[20:21], v[20:21]
	s_delay_alu instid0(VALU_DEP_3) | instskip(SKIP_1) | instid1(VALU_DEP_4)
	v_add_f64_e32 v[4:5], v[4:5], v[10:11]
	v_fma_f64 v[10:11], v[165:166], s[16:17], -v[159:160]
	v_add_f64_e32 v[6:7], v[6:7], v[30:31]
	s_delay_alu instid0(VALU_DEP_2) | instskip(SKIP_1) | instid1(VALU_DEP_1)
	v_add_f64_e32 v[4:5], v[10:11], v[4:5]
	v_fma_f64 v[10:11], v[169:170], s[38:39], v[200:201]
	v_add_f64_e32 v[6:7], v[10:11], v[6:7]
	v_fma_f64 v[10:11], v[173:174], s[18:19], -v[202:203]
	s_delay_alu instid0(VALU_DEP_1) | instskip(SKIP_1) | instid1(VALU_DEP_1)
	v_add_f64_e32 v[4:5], v[10:11], v[4:5]
	;; [unrolled: 20-line block ×3, first 2 shown]
	v_fma_f64 v[8:9], v[177:178], s[34:35], v[196:197]
	v_add_f64_e32 v[6:7], v[8:9], v[6:7]
	v_fma_f64 v[8:9], v[181:182], s[18:19], -v[198:199]
	s_delay_alu instid0(VALU_DEP_2) | instskip(NEXT) | instid1(VALU_DEP_2)
	v_add_f64_e32 v[163:164], v[10:11], v[6:7]
	v_add_f64_e32 v[161:162], v[8:9], v[4:5]
	v_fma_f64 v[4:5], v[42:43], s[16:17], v[44:45]
	v_fma_f64 v[6:7], v[122:123], s[38:39], v[130:131]
	v_fma_f64 v[8:9], v[165:166], s[14:15], v[167:168]
	v_fma_f64 v[10:11], v[169:170], s[34:35], v[171:172]
	s_delay_alu instid0(VALU_DEP_4) | instskip(NEXT) | instid1(VALU_DEP_4)
	v_add_f64_e32 v[0:1], v[4:5], v[0:1]
	v_add_f64_e32 v[2:3], v[6:7], v[2:3]
	v_fma_f64 v[4:5], v[173:174], s[12:13], v[175:176]
	v_fma_f64 v[6:7], v[177:178], s[8:9], v[179:180]
	s_delay_alu instid0(VALU_DEP_4) | instskip(NEXT) | instid1(VALU_DEP_4)
	v_add_f64_e32 v[0:1], v[8:9], v[0:1]
	v_add_f64_e32 v[2:3], v[10:11], v[2:3]
	v_fma_f64 v[8:9], v[181:182], s[2:3], v[183:184]
	v_fma_f64 v[10:11], v[187:188], s[30:31], v[190:191]
	s_delay_alu instid0(VALU_DEP_4) | instskip(NEXT) | instid1(VALU_DEP_4)
	v_add_f64_e32 v[0:1], v[4:5], v[0:1]
	v_add_f64_e32 v[2:3], v[6:7], v[2:3]
	s_delay_alu instid0(VALU_DEP_2) | instskip(NEXT) | instid1(VALU_DEP_2)
	v_add_f64_e32 v[165:166], v[8:9], v[0:1]
	v_add_f64_e32 v[167:168], v[10:11], v[2:3]
	;; [unrolled: 1-line block ×4, first 2 shown]
	s_delay_alu instid0(VALU_DEP_2) | instskip(NEXT) | instid1(VALU_DEP_2)
	v_add_f64_e32 v[0:1], v[0:1], v[112:113]
	v_add_f64_e32 v[2:3], v[2:3], v[124:125]
	s_delay_alu instid0(VALU_DEP_2) | instskip(NEXT) | instid1(VALU_DEP_2)
	v_add_f64_e32 v[0:1], v[0:1], v[114:115]
	v_add_f64_e32 v[2:3], v[2:3], v[100:101]
	s_delay_alu instid0(VALU_DEP_2) | instskip(NEXT) | instid1(VALU_DEP_2)
	v_add_f64_e32 v[0:1], v[0:1], v[102:103]
	v_add_f64_e32 v[2:3], v[2:3], v[116:117]
	s_delay_alu instid0(VALU_DEP_2) | instskip(NEXT) | instid1(VALU_DEP_2)
	v_add_f64_e32 v[0:1], v[0:1], v[118:119]
	v_add_f64_e32 v[2:3], v[2:3], v[108:109]
	s_delay_alu instid0(VALU_DEP_2) | instskip(NEXT) | instid1(VALU_DEP_2)
	v_add_f64_e32 v[0:1], v[0:1], v[110:111]
	v_add_f64_e32 v[2:3], v[2:3], v[92:93]
	s_delay_alu instid0(VALU_DEP_2) | instskip(NEXT) | instid1(VALU_DEP_2)
	v_add_f64_e32 v[0:1], v[0:1], v[98:99]
	v_add_f64_e32 v[2:3], v[2:3], v[96:97]
	s_delay_alu instid0(VALU_DEP_2) | instskip(NEXT) | instid1(VALU_DEP_2)
	v_add_f64_e32 v[0:1], v[0:1], v[58:59]
	v_add_f64_e32 v[2:3], v[2:3], v[56:57]
	s_delay_alu instid0(VALU_DEP_2) | instskip(NEXT) | instid1(VALU_DEP_2)
	v_add_f64_e32 v[56:57], v[0:1], v[50:51]
	v_add_f64_e32 v[58:59], v[2:3], v[48:49]
	ds_store_b128 v189, v[133:136] offset:352
	ds_store_b128 v189, v[137:140] offset:528
	;; [unrolled: 1-line block ×10, first 2 shown]
	ds_store_b128 v189, v[56:59]
	global_wb scope:SCOPE_SE
	s_wait_dscnt 0x0
	s_barrier_signal -1
	s_barrier_wait -1
	global_inv scope:SCOPE_SE
	ds_load_b128 v[48:51], v186 offset:1936
	ds_load_b128 v[56:59], v186
	scratch_load_b128 v[4:7], off, off offset:184 th:TH_LOAD_LU ; 16-byte Folded Reload
	s_wait_loadcnt_dscnt 0x1
	v_mul_f64_e32 v[0:1], v[6:7], v[50:51]
	v_mul_f64_e32 v[2:3], v[6:7], v[48:49]
	s_delay_alu instid0(VALU_DEP_2) | instskip(NEXT) | instid1(VALU_DEP_2)
	v_fma_f64 v[0:1], v[4:5], v[48:49], v[0:1]
	v_fma_f64 v[2:3], v[4:5], v[50:51], -v[2:3]
	ds_load_b128 v[44:47], v186 offset:3872
	ds_load_b128 v[48:51], v186 offset:5808
	s_wait_dscnt 0x1
	v_mul_f64_e32 v[4:5], v[54:55], v[44:45]
	v_mul_f64_e32 v[6:7], v[54:55], v[46:47]
	s_wait_dscnt 0x0
	v_mul_f64_e32 v[12:13], v[82:83], v[48:49]
	v_mul_f64_e32 v[14:15], v[82:83], v[50:51]
	s_delay_alu instid0(VALU_DEP_4) | instskip(NEXT) | instid1(VALU_DEP_4)
	v_fma_f64 v[4:5], v[52:53], v[46:47], -v[4:5]
	v_fma_f64 v[6:7], v[52:53], v[44:45], v[6:7]
	ds_load_b128 v[44:47], v186 offset:19360
	v_fma_f64 v[12:13], v[80:81], v[50:51], -v[12:13]
	v_fma_f64 v[14:15], v[80:81], v[48:49], v[14:15]
	s_wait_dscnt 0x0
	v_mul_f64_e32 v[8:9], v[74:75], v[44:45]
	v_mul_f64_e32 v[10:11], v[74:75], v[46:47]
	s_delay_alu instid0(VALU_DEP_2) | instskip(NEXT) | instid1(VALU_DEP_2)
	v_fma_f64 v[8:9], v[72:73], v[46:47], -v[8:9]
	v_fma_f64 v[10:11], v[72:73], v[44:45], v[10:11]
	ds_load_b128 v[44:47], v186 offset:17424
	ds_load_b128 v[48:51], v186 offset:15488
	s_wait_dscnt 0x1
	v_mul_f64_e32 v[16:17], v[62:63], v[44:45]
	v_mul_f64_e32 v[18:19], v[62:63], v[46:47]
	s_wait_dscnt 0x0
	v_mul_f64_e32 v[20:21], v[90:91], v[48:49]
	v_mul_f64_e32 v[22:23], v[90:91], v[50:51]
	v_add_f64_e64 v[40:41], v[2:3], -v[8:9]
	v_add_f64_e64 v[74:75], v[0:1], -v[10:11]
	v_fma_f64 v[16:17], v[60:61], v[46:47], -v[16:17]
	v_fma_f64 v[18:19], v[60:61], v[44:45], v[18:19]
	v_fma_f64 v[20:21], v[88:89], v[50:51], -v[20:21]
	v_fma_f64 v[22:23], v[88:89], v[48:49], v[22:23]
	ds_load_b128 v[44:47], v186 offset:7744
	ds_load_b128 v[48:51], v186 offset:9680
	v_mul_f64_e32 v[42:43], s[22:23], v[40:41]
	s_wait_dscnt 0x1
	v_mul_f64_e32 v[24:25], v[70:71], v[46:47]
	v_mul_f64_e32 v[26:27], v[70:71], v[44:45]
	s_wait_dscnt 0x0
	v_mul_f64_e32 v[32:33], v[78:79], v[50:51]
	v_mul_f64_e32 v[34:35], v[78:79], v[48:49]
	v_add_f64_e64 v[92:93], v[4:5], -v[16:17]
	v_add_f64_e32 v[94:95], v[6:7], v[18:19]
	v_add_f64_e32 v[98:99], v[4:5], v[16:17]
	v_add_f64_e64 v[104:105], v[12:13], -v[20:21]
	v_add_f64_e64 v[100:101], v[6:7], -v[18:19]
	v_add_f64_e32 v[106:107], v[14:15], v[22:23]
	v_add_f64_e32 v[110:111], v[12:13], v[20:21]
	v_add_f64_e64 v[112:113], v[14:15], -v[22:23]
	v_fma_f64 v[24:25], v[68:69], v[44:45], v[24:25]
	v_fma_f64 v[26:27], v[68:69], v[46:47], -v[26:27]
	ds_load_b128 v[44:47], v186 offset:13552
	ds_load_b128 v[52:55], v186 offset:11616
	v_fma_f64 v[32:33], v[76:77], v[48:49], v[32:33]
	v_fma_f64 v[34:35], v[76:77], v[50:51], -v[34:35]
	v_mul_f64_e32 v[48:49], s[20:21], v[40:41]
	v_add_f64_e32 v[50:51], v[0:1], v[10:11]
	v_add_f64_e32 v[0:1], v[56:57], v[0:1]
	v_mul_f64_e32 v[96:97], s[28:29], v[92:93]
	v_mul_f64_e32 v[138:139], s[20:21], v[92:93]
	;; [unrolled: 1-line block ×6, first 2 shown]
	s_wait_dscnt 0x1
	v_mul_f64_e32 v[28:29], v[86:87], v[46:47]
	v_mul_f64_e32 v[30:31], v[86:87], v[44:45]
	s_wait_dscnt 0x0
	v_mul_f64_e32 v[36:37], v[66:67], v[54:55]
	v_mul_f64_e32 v[38:39], v[66:67], v[52:53]
	;; [unrolled: 1-line block ×10, first 2 shown]
	v_fma_f64 v[62:63], v[50:51], s[12:13], v[48:49]
	v_fma_f64 v[48:49], v[50:51], s[12:13], -v[48:49]
	v_add_f64_e32 v[0:1], v[0:1], v[6:7]
	v_fma_f64 v[28:29], v[84:85], v[44:45], v[28:29]
	v_fma_f64 v[30:31], v[84:85], v[46:47], -v[30:31]
	v_mul_f64_e32 v[44:45], s[28:29], v[40:41]
	v_mul_f64_e32 v[46:47], s[26:27], v[40:41]
	;; [unrolled: 1-line block ×3, first 2 shown]
	v_fma_f64 v[36:37], v[64:65], v[52:53], v[36:37]
	v_fma_f64 v[38:39], v[64:65], v[54:55], -v[38:39]
	v_fma_f64 v[52:53], v[50:51], s[18:19], v[42:43]
	v_fma_f64 v[42:43], v[50:51], s[18:19], -v[42:43]
	v_add_f64_e32 v[62:63], v[56:57], v[62:63]
	v_add_f64_e32 v[0:1], v[0:1], v[14:15]
	;; [unrolled: 1-line block ×3, first 2 shown]
	v_add_f64_e64 v[116:117], v[26:27], -v[30:31]
	v_fma_f64 v[54:55], v[50:51], s[16:17], v[44:45]
	v_fma_f64 v[44:45], v[50:51], s[16:17], -v[44:45]
	v_fma_f64 v[60:61], v[50:51], s[14:15], v[46:47]
	v_fma_f64 v[46:47], v[50:51], s[14:15], -v[46:47]
	;; [unrolled: 2-line block ×3, first 2 shown]
	v_add_f64_e32 v[50:51], v[2:3], v[8:9]
	v_add_f64_e32 v[42:43], v[56:57], v[42:43]
	;; [unrolled: 1-line block ×4, first 2 shown]
	v_add_f64_e64 v[124:125], v[24:25], -v[28:29]
	v_add_f64_e64 v[128:129], v[34:35], -v[38:39]
	v_add_f64_e32 v[130:131], v[32:33], v[36:37]
	v_add_f64_e64 v[134:135], v[32:33], -v[36:37]
	v_add_f64_e32 v[2:3], v[58:59], v[2:3]
	v_add_f64_e32 v[0:1], v[0:1], v[24:25]
	v_mul_f64_e32 v[120:121], s[20:21], v[116:117]
	v_add_f64_e32 v[54:55], v[56:57], v[54:55]
	v_mul_f64_e32 v[146:147], s[34:35], v[116:117]
	;; [unrolled: 2-line block ×3, first 2 shown]
	v_add_f64_e32 v[64:65], v[56:57], v[64:65]
	v_add_f64_e32 v[40:41], v[56:57], v[40:41]
	v_mul_f64_e32 v[66:67], s[18:19], v[50:51]
	v_mul_f64_e32 v[68:69], s[16:17], v[50:51]
	v_mul_f64_e32 v[70:71], s[14:15], v[50:51]
	v_mul_f64_e32 v[72:73], s[12:13], v[50:51]
	v_mul_f64_e32 v[50:51], s[2:3], v[50:51]
	v_mul_f64_e32 v[126:127], s[12:13], v[122:123]
	v_mul_f64_e32 v[132:133], s[24:25], v[128:129]
	v_mul_f64_e32 v[148:149], s[14:15], v[122:123]
	v_mul_f64_e32 v[150:151], s[36:37], v[128:129]
	v_mul_f64_e32 v[164:165], s[18:19], v[122:123]
	v_mul_f64_e32 v[166:167], s[20:21], v[128:129]
	v_mul_f64_e32 v[174:175], s[24:25], v[116:117]
	v_mul_f64_e32 v[176:177], s[2:3], v[122:123]
	v_mul_f64_e32 v[178:179], s[38:39], v[128:129]
	v_add_f64_e32 v[2:3], v[2:3], v[4:5]
	v_add_f64_e32 v[0:1], v[0:1], v[32:33]
	v_fma_f64 v[76:77], v[74:75], s[36:37], v[66:67]
	v_fma_f64 v[66:67], v[74:75], s[22:23], v[66:67]
	;; [unrolled: 1-line block ×10, first 2 shown]
	v_add_f64_e32 v[74:75], v[56:57], v[46:47]
	v_fma_f64 v[46:47], v[106:107], s[14:15], -v[108:109]
	v_add_f64_e32 v[2:3], v[2:3], v[12:13]
	v_add_f64_e32 v[0:1], v[0:1], v[36:37]
	;; [unrolled: 1-line block ×4, first 2 shown]
	v_fma_f64 v[44:45], v[94:95], s[16:17], -v[96:97]
	v_add_f64_e32 v[52:53], v[58:59], v[66:67]
	v_add_f64_e32 v[66:67], v[58:59], v[78:79]
	;; [unrolled: 1-line block ×8, first 2 shown]
	v_fma_f64 v[50:51], v[100:101], s[8:9], v[140:141]
	v_fma_f64 v[56:57], v[106:107], s[16:17], v[158:159]
	v_add_f64_e32 v[72:73], v[58:59], v[72:73]
	v_add_f64_e32 v[84:85], v[58:59], v[84:85]
	v_fma_f64 v[58:59], v[100:101], s[26:27], v[170:171]
	v_add_f64_e32 v[2:3], v[2:3], v[26:27]
	v_add_f64_e32 v[0:1], v[0:1], v[28:29]
	;; [unrolled: 1-line block ×3, first 2 shown]
	v_fma_f64 v[44:45], v[100:101], s[28:29], v[102:103]
	v_add_f64_e32 v[50:51], v[50:51], v[66:67]
	v_mul_f64_e32 v[66:67], s[36:37], v[92:93]
	v_add_f64_e32 v[58:59], v[58:59], v[70:71]
	v_mul_f64_e32 v[70:71], s[22:23], v[104:105]
	v_add_f64_e32 v[2:3], v[2:3], v[34:35]
	v_add_f64_e32 v[0:1], v[0:1], v[22:23]
	;; [unrolled: 1-line block ×4, first 2 shown]
	v_fma_f64 v[46:47], v[112:113], s[26:27], v[114:115]
	v_fma_f64 v[52:53], v[106:107], s[2:3], v[142:143]
	v_add_f64_e32 v[2:3], v[2:3], v[38:39]
	v_add_f64_e32 v[0:1], v[0:1], v[18:19]
	s_delay_alu instid0(VALU_DEP_4) | instskip(SKIP_1) | instid1(VALU_DEP_4)
	v_add_f64_e32 v[44:45], v[46:47], v[44:45]
	v_fma_f64 v[46:47], v[118:119], s[12:13], -v[120:121]
	v_add_f64_e32 v[2:3], v[2:3], v[30:31]
	s_delay_alu instid0(VALU_DEP_2) | instskip(SKIP_1) | instid1(VALU_DEP_3)
	v_add_f64_e32 v[42:43], v[46:47], v[42:43]
	v_fma_f64 v[46:47], v[124:125], s[20:21], v[126:127]
	v_add_f64_e32 v[2:3], v[2:3], v[20:21]
	s_delay_alu instid0(VALU_DEP_2) | instskip(SKIP_1) | instid1(VALU_DEP_3)
	v_add_f64_e32 v[46:47], v[46:47], v[44:45]
	v_fma_f64 v[44:45], v[130:131], s[2:3], -v[132:133]
	v_add_f64_e32 v[2:3], v[2:3], v[16:17]
	s_delay_alu instid0(VALU_DEP_2) | instskip(SKIP_1) | instid1(VALU_DEP_1)
	v_add_f64_e32 v[44:45], v[44:45], v[42:43]
	v_add_f64_e32 v[42:43], v[34:35], v[38:39]
	v_mul_f64_e32 v[136:137], s[2:3], v[42:43]
	v_mul_f64_e32 v[152:153], s[18:19], v[42:43]
	;; [unrolled: 1-line block ×5, first 2 shown]
	v_fma_f64 v[48:49], v[134:135], s[24:25], v[136:137]
	s_delay_alu instid0(VALU_DEP_1) | instskip(SKIP_1) | instid1(VALU_DEP_1)
	v_add_f64_e32 v[46:47], v[48:49], v[46:47]
	v_fma_f64 v[48:49], v[94:95], s[12:13], v[138:139]
	v_add_f64_e32 v[48:49], v[48:49], v[54:55]
	v_fma_f64 v[54:55], v[100:101], s[24:25], v[156:157]
	s_delay_alu instid0(VALU_DEP_2) | instskip(SKIP_1) | instid1(VALU_DEP_3)
	v_add_f64_e32 v[48:49], v[52:53], v[48:49]
	v_fma_f64 v[52:53], v[112:113], s[24:25], v[144:145]
	v_add_f64_e32 v[54:55], v[54:55], v[68:69]
	v_mul_f64_e32 v[68:69], s[34:35], v[92:93]
	s_delay_alu instid0(VALU_DEP_3) | instskip(SKIP_1) | instid1(VALU_DEP_1)
	v_add_f64_e32 v[50:51], v[52:53], v[50:51]
	v_fma_f64 v[52:53], v[118:119], s[14:15], v[146:147]
	v_add_f64_e32 v[48:49], v[52:53], v[48:49]
	v_fma_f64 v[52:53], v[124:125], s[26:27], v[148:149]
	s_delay_alu instid0(VALU_DEP_1) | instskip(SKIP_1) | instid1(VALU_DEP_1)
	v_add_f64_e32 v[50:51], v[52:53], v[50:51]
	v_fma_f64 v[52:53], v[130:131], s[18:19], v[150:151]
	v_add_f64_e32 v[48:49], v[52:53], v[48:49]
	v_fma_f64 v[52:53], v[134:135], s[22:23], v[152:153]
	s_delay_alu instid0(VALU_DEP_1) | instskip(SKIP_1) | instid1(VALU_DEP_1)
	v_add_f64_e32 v[50:51], v[52:53], v[50:51]
	v_fma_f64 v[52:53], v[94:95], s[2:3], v[154:155]
	v_add_f64_e32 v[52:53], v[52:53], v[60:61]
	v_fma_f64 v[60:61], v[106:107], s[18:19], v[70:71]
	s_delay_alu instid0(VALU_DEP_2) | instskip(SKIP_1) | instid1(VALU_DEP_1)
	v_add_f64_e32 v[52:53], v[56:57], v[52:53]
	v_fma_f64 v[56:57], v[112:113], s[28:29], v[160:161]
	v_add_f64_e32 v[54:55], v[56:57], v[54:55]
	v_fma_f64 v[56:57], v[118:119], s[18:19], v[162:163]
	s_delay_alu instid0(VALU_DEP_1) | instskip(SKIP_1) | instid1(VALU_DEP_1)
	v_add_f64_e32 v[52:53], v[56:57], v[52:53]
	v_fma_f64 v[56:57], v[124:125], s[36:37], v[164:165]
	v_add_f64_e32 v[54:55], v[56:57], v[54:55]
	v_fma_f64 v[56:57], v[130:131], s[12:13], v[166:167]
	s_delay_alu instid0(VALU_DEP_1) | instskip(SKIP_1) | instid1(VALU_DEP_1)
	v_add_f64_e32 v[52:53], v[56:57], v[52:53]
	v_fma_f64 v[56:57], v[134:135], s[8:9], v[168:169]
	v_add_f64_e32 v[54:55], v[56:57], v[54:55]
	v_fma_f64 v[56:57], v[94:95], s[14:15], v[68:69]
	s_delay_alu instid0(VALU_DEP_1) | instskip(NEXT) | instid1(VALU_DEP_1)
	v_add_f64_e32 v[56:57], v[56:57], v[62:63]
	v_add_f64_e32 v[56:57], v[60:61], v[56:57]
	v_fma_f64 v[60:61], v[112:113], s[36:37], v[172:173]
	s_delay_alu instid0(VALU_DEP_1) | instskip(SKIP_1) | instid1(VALU_DEP_1)
	v_add_f64_e32 v[58:59], v[60:61], v[58:59]
	v_fma_f64 v[60:61], v[118:119], s[2:3], v[174:175]
	v_add_f64_e32 v[56:57], v[60:61], v[56:57]
	v_fma_f64 v[60:61], v[124:125], s[30:31], v[176:177]
	s_delay_alu instid0(VALU_DEP_1) | instskip(SKIP_1) | instid1(VALU_DEP_1)
	v_add_f64_e32 v[58:59], v[60:61], v[58:59]
	v_fma_f64 v[60:61], v[130:131], s[16:17], v[178:179]
	v_add_f64_e32 v[56:57], v[60:61], v[56:57]
	v_fma_f64 v[60:61], v[134:135], s[28:29], v[180:181]
	s_delay_alu instid0(VALU_DEP_1) | instskip(SKIP_2) | instid1(VALU_DEP_2)
	v_add_f64_e32 v[58:59], v[60:61], v[58:59]
	v_fma_f64 v[60:61], v[94:95], s[18:19], v[66:67]
	v_fma_f64 v[66:67], v[94:95], s[18:19], -v[66:67]
	v_add_f64_e32 v[60:61], v[60:61], v[64:65]
	v_mul_f64_e32 v[64:65], s[18:19], v[98:99]
	s_delay_alu instid0(VALU_DEP_3) | instskip(NEXT) | instid1(VALU_DEP_2)
	v_add_f64_e32 v[40:41], v[66:67], v[40:41]
	v_fma_f64 v[62:63], v[100:101], s[22:23], v[64:65]
	v_fma_f64 v[64:65], v[100:101], s[36:37], v[64:65]
	s_delay_alu instid0(VALU_DEP_2) | instskip(SKIP_1) | instid1(VALU_DEP_3)
	v_add_f64_e32 v[62:63], v[62:63], v[84:85]
	v_mul_f64_e32 v[84:85], s[20:21], v[104:105]
	v_add_f64_e32 v[64:65], v[64:65], v[90:91]
	s_delay_alu instid0(VALU_DEP_2) | instskip(SKIP_2) | instid1(VALU_DEP_3)
	v_fma_f64 v[92:93], v[106:107], s[12:13], v[84:85]
	v_fma_f64 v[66:67], v[106:107], s[12:13], -v[84:85]
	v_fma_f64 v[84:85], v[118:119], s[12:13], v[120:121]
	v_add_f64_e32 v[60:61], v[92:93], v[60:61]
	v_mul_f64_e32 v[92:93], s[12:13], v[110:111]
	s_delay_alu instid0(VALU_DEP_4) | instskip(NEXT) | instid1(VALU_DEP_2)
	v_add_f64_e32 v[40:41], v[66:67], v[40:41]
	v_fma_f64 v[98:99], v[112:113], s[8:9], v[92:93]
	v_fma_f64 v[66:67], v[112:113], s[20:21], v[92:93]
	s_delay_alu instid0(VALU_DEP_2) | instskip(SKIP_1) | instid1(VALU_DEP_3)
	v_add_f64_e32 v[62:63], v[98:99], v[62:63]
	v_mul_f64_e32 v[98:99], s[38:39], v[116:117]
	v_add_f64_e32 v[64:65], v[66:67], v[64:65]
	s_delay_alu instid0(VALU_DEP_2) | instskip(SKIP_1) | instid1(VALU_DEP_2)
	v_fma_f64 v[104:105], v[118:119], s[16:17], v[98:99]
	v_fma_f64 v[66:67], v[118:119], s[16:17], -v[98:99]
	v_add_f64_e32 v[60:61], v[104:105], v[60:61]
	v_mul_f64_e32 v[104:105], s[16:17], v[122:123]
	s_delay_alu instid0(VALU_DEP_3) | instskip(NEXT) | instid1(VALU_DEP_2)
	v_add_f64_e32 v[40:41], v[66:67], v[40:41]
	v_fma_f64 v[110:111], v[124:125], s[28:29], v[104:105]
	v_fma_f64 v[66:67], v[124:125], s[38:39], v[104:105]
	s_delay_alu instid0(VALU_DEP_2) | instskip(SKIP_1) | instid1(VALU_DEP_3)
	v_add_f64_e32 v[62:63], v[110:111], v[62:63]
	v_mul_f64_e32 v[110:111], s[26:27], v[128:129]
	v_add_f64_e32 v[66:67], v[66:67], v[64:65]
	s_delay_alu instid0(VALU_DEP_2) | instskip(SKIP_1) | instid1(VALU_DEP_2)
	v_fma_f64 v[116:117], v[130:131], s[14:15], v[110:111]
	v_fma_f64 v[64:65], v[130:131], s[14:15], -v[110:111]
	v_add_f64_e32 v[60:61], v[116:117], v[60:61]
	v_fma_f64 v[116:117], v[134:135], s[34:35], v[42:43]
	v_fma_f64 v[42:43], v[134:135], s[26:27], v[42:43]
	s_delay_alu instid0(VALU_DEP_4)
	v_add_f64_e32 v[64:65], v[64:65], v[40:41]
	v_fma_f64 v[40:41], v[94:95], s[14:15], -v[68:69]
	v_fma_f64 v[68:69], v[106:107], s[18:19], -v[70:71]
	v_fma_f64 v[70:71], v[134:135], s[38:39], v[180:181]
	v_add_f64_e32 v[62:63], v[116:117], v[62:63]
	v_add_f64_e32 v[66:67], v[42:43], v[66:67]
	v_fma_f64 v[42:43], v[100:101], s[34:35], v[170:171]
	v_add_f64_e32 v[40:41], v[40:41], v[82:83]
	v_fma_f64 v[82:83], v[112:113], s[34:35], v[114:115]
	s_delay_alu instid0(VALU_DEP_3) | instskip(NEXT) | instid1(VALU_DEP_3)
	v_add_f64_e32 v[42:43], v[42:43], v[72:73]
	v_add_f64_e32 v[40:41], v[68:69], v[40:41]
	v_fma_f64 v[68:69], v[112:113], s[22:23], v[172:173]
	v_fma_f64 v[72:73], v[106:107], s[16:17], -v[158:159]
	s_delay_alu instid0(VALU_DEP_2) | instskip(SKIP_1) | instid1(VALU_DEP_1)
	v_add_f64_e32 v[42:43], v[68:69], v[42:43]
	v_fma_f64 v[68:69], v[118:119], s[2:3], -v[174:175]
	v_add_f64_e32 v[40:41], v[68:69], v[40:41]
	v_fma_f64 v[68:69], v[124:125], s[24:25], v[176:177]
	s_delay_alu instid0(VALU_DEP_1) | instskip(SKIP_1) | instid1(VALU_DEP_2)
	v_add_f64_e32 v[42:43], v[68:69], v[42:43]
	v_fma_f64 v[68:69], v[130:131], s[16:17], -v[178:179]
	v_add_f64_e32 v[70:71], v[70:71], v[42:43]
	s_delay_alu instid0(VALU_DEP_2) | instskip(SKIP_2) | instid1(VALU_DEP_2)
	v_add_f64_e32 v[68:69], v[68:69], v[40:41]
	v_fma_f64 v[40:41], v[94:95], s[2:3], -v[154:155]
	v_fma_f64 v[42:43], v[100:101], s[30:31], v[156:157]
	v_add_f64_e32 v[40:41], v[40:41], v[74:75]
	s_delay_alu instid0(VALU_DEP_2) | instskip(SKIP_2) | instid1(VALU_DEP_4)
	v_add_f64_e32 v[42:43], v[42:43], v[80:81]
	v_fma_f64 v[74:75], v[134:135], s[20:21], v[168:169]
	v_fma_f64 v[80:81], v[106:107], s[14:15], v[108:109]
	v_add_f64_e32 v[40:41], v[72:73], v[40:41]
	v_fma_f64 v[72:73], v[112:113], s[38:39], v[160:161]
	s_delay_alu instid0(VALU_DEP_1) | instskip(SKIP_1) | instid1(VALU_DEP_1)
	v_add_f64_e32 v[42:43], v[72:73], v[42:43]
	v_fma_f64 v[72:73], v[118:119], s[18:19], -v[162:163]
	v_add_f64_e32 v[40:41], v[72:73], v[40:41]
	v_fma_f64 v[72:73], v[124:125], s[22:23], v[164:165]
	s_delay_alu instid0(VALU_DEP_1) | instskip(SKIP_1) | instid1(VALU_DEP_2)
	v_add_f64_e32 v[42:43], v[72:73], v[42:43]
	v_fma_f64 v[72:73], v[130:131], s[12:13], -v[166:167]
	v_add_f64_e32 v[74:75], v[74:75], v[42:43]
	s_delay_alu instid0(VALU_DEP_2) | instskip(SKIP_2) | instid1(VALU_DEP_2)
	v_add_f64_e32 v[72:73], v[72:73], v[40:41]
	v_fma_f64 v[40:41], v[94:95], s[12:13], -v[138:139]
	v_fma_f64 v[42:43], v[100:101], s[20:21], v[140:141]
	v_add_f64_e32 v[40:41], v[40:41], v[76:77]
	v_fma_f64 v[76:77], v[106:107], s[2:3], -v[142:143]
	s_delay_alu instid0(VALU_DEP_3) | instskip(SKIP_1) | instid1(VALU_DEP_3)
	v_add_f64_e32 v[42:43], v[42:43], v[78:79]
	v_fma_f64 v[78:79], v[134:135], s[36:37], v[152:153]
	v_add_f64_e32 v[40:41], v[76:77], v[40:41]
	v_fma_f64 v[76:77], v[112:113], s[30:31], v[144:145]
	s_delay_alu instid0(VALU_DEP_1) | instskip(SKIP_1) | instid1(VALU_DEP_1)
	v_add_f64_e32 v[42:43], v[76:77], v[42:43]
	v_fma_f64 v[76:77], v[118:119], s[14:15], -v[146:147]
	v_add_f64_e32 v[40:41], v[76:77], v[40:41]
	v_fma_f64 v[76:77], v[124:125], s[34:35], v[148:149]
	s_delay_alu instid0(VALU_DEP_1) | instskip(SKIP_1) | instid1(VALU_DEP_2)
	v_add_f64_e32 v[42:43], v[76:77], v[42:43]
	v_fma_f64 v[76:77], v[130:131], s[18:19], -v[150:151]
	v_add_f64_e32 v[78:79], v[78:79], v[42:43]
	s_delay_alu instid0(VALU_DEP_2) | instskip(SKIP_2) | instid1(VALU_DEP_2)
	v_add_f64_e32 v[76:77], v[76:77], v[40:41]
	v_fma_f64 v[40:41], v[94:95], s[16:17], v[96:97]
	v_fma_f64 v[42:43], v[100:101], s[38:39], v[102:103]
	v_add_f64_e32 v[40:41], v[40:41], v[86:87]
	s_delay_alu instid0(VALU_DEP_2) | instskip(SKIP_1) | instid1(VALU_DEP_3)
	v_add_f64_e32 v[42:43], v[42:43], v[88:89]
	v_fma_f64 v[86:87], v[124:125], s[8:9], v[126:127]
	v_add_f64_e32 v[40:41], v[80:81], v[40:41]
	s_delay_alu instid0(VALU_DEP_3) | instskip(SKIP_3) | instid1(VALU_DEP_4)
	v_add_f64_e32 v[42:43], v[82:83], v[42:43]
	v_fma_f64 v[80:81], v[130:131], s[2:3], v[132:133]
	v_fma_f64 v[82:83], v[134:135], s[30:31], v[136:137]
	s_mul_u64 s[2:3], s[4:5], 0x790
	v_add_f64_e32 v[40:41], v[84:85], v[40:41]
	s_delay_alu instid0(VALU_DEP_4) | instskip(SKIP_2) | instid1(VALU_DEP_4)
	v_add_f64_e32 v[42:43], v[86:87], v[42:43]
	v_add_f64_e32 v[84:85], v[0:1], v[10:11]
	;; [unrolled: 1-line block ×4, first 2 shown]
	s_delay_alu instid0(VALU_DEP_4)
	v_add_f64_e32 v[82:83], v[82:83], v[42:43]
	ds_store_b128 v186, v[48:51] offset:3872
	ds_store_b128 v186, v[52:55] offset:5808
	;; [unrolled: 1-line block ×10, first 2 shown]
	ds_store_b128 v186, v[84:87]
	global_wb scope:SCOPE_SE
	s_wait_dscnt 0x0
	s_barrier_signal -1
	s_barrier_wait -1
	global_inv scope:SCOPE_SE
	ds_load_b128 v[44:47], v186
	ds_load_b128 v[48:51], v186 offset:1936
	scratch_load_b128 v[2:5], off, off offset:8 th:TH_LOAD_LU ; 16-byte Folded Reload
	s_wait_loadcnt_dscnt 0x1
	v_mul_f64_e32 v[0:1], v[4:5], v[46:47]
	s_delay_alu instid0(VALU_DEP_1) | instskip(SKIP_1) | instid1(VALU_DEP_1)
	v_fma_f64 v[8:9], v[2:3], v[44:45], v[0:1]
	v_mul_f64_e32 v[0:1], v[4:5], v[44:45]
	v_fma_f64 v[10:11], v[2:3], v[46:47], -v[0:1]
	scratch_load_b128 v[2:5], off, off offset:40 th:TH_LOAD_LU ; 16-byte Folded Reload
	s_wait_loadcnt_dscnt 0x0
	v_mul_f64_e32 v[0:1], v[4:5], v[50:51]
	s_delay_alu instid0(VALU_DEP_1) | instskip(SKIP_1) | instid1(VALU_DEP_1)
	v_fma_f64 v[12:13], v[2:3], v[48:49], v[0:1]
	v_mul_f64_e32 v[0:1], v[4:5], v[48:49]
	v_fma_f64 v[14:15], v[2:3], v[50:51], -v[0:1]
	ds_load_b128 v[0:3], v186 offset:3872
	ds_load_b128 v[4:7], v186 offset:5808
	s_clause 0x1
	scratch_load_b128 v[18:21], off, off offset:24 th:TH_LOAD_LU
	scratch_load_b128 v[22:25], off, off offset:56 th:TH_LOAD_LU
	s_wait_loadcnt_dscnt 0x101
	v_mul_f64_e32 v[16:17], v[20:21], v[2:3]
	s_delay_alu instid0(VALU_DEP_1) | instskip(SKIP_1) | instid1(VALU_DEP_1)
	v_fma_f64 v[16:17], v[18:19], v[0:1], v[16:17]
	v_mul_f64_e32 v[0:1], v[20:21], v[0:1]
	v_fma_f64 v[18:19], v[18:19], v[2:3], -v[0:1]
	s_wait_loadcnt_dscnt 0x0
	v_mul_f64_e32 v[0:1], v[24:25], v[6:7]
	s_delay_alu instid0(VALU_DEP_1) | instskip(SKIP_1) | instid1(VALU_DEP_1)
	v_fma_f64 v[20:21], v[22:23], v[4:5], v[0:1]
	v_mul_f64_e32 v[0:1], v[24:25], v[4:5]
	v_fma_f64 v[22:23], v[22:23], v[6:7], -v[0:1]
	ds_load_b128 v[0:3], v186 offset:7744
	ds_load_b128 v[4:7], v186 offset:9680
	s_clause 0x1
	scratch_load_b128 v[26:29], off, off offset:72 th:TH_LOAD_LU
	scratch_load_b128 v[30:33], off, off offset:88 th:TH_LOAD_LU
	s_wait_loadcnt_dscnt 0x101
	v_mul_f64_e32 v[24:25], v[28:29], v[2:3]
	s_delay_alu instid0(VALU_DEP_1) | instskip(SKIP_1) | instid1(VALU_DEP_1)
	v_fma_f64 v[24:25], v[26:27], v[0:1], v[24:25]
	v_mul_f64_e32 v[0:1], v[28:29], v[0:1]
	v_fma_f64 v[26:27], v[26:27], v[2:3], -v[0:1]
	;; [unrolled: 17-line block ×3, first 2 shown]
	s_wait_loadcnt_dscnt 0x0
	v_mul_f64_e32 v[0:1], v[40:41], v[6:7]
	s_delay_alu instid0(VALU_DEP_1) | instskip(SKIP_1) | instid1(VALU_DEP_1)
	v_fma_f64 v[36:37], v[38:39], v[4:5], v[0:1]
	v_mul_f64_e32 v[0:1], v[40:41], v[4:5]
	v_fma_f64 v[38:39], v[38:39], v[6:7], -v[0:1]
	ds_load_b128 v[0:3], v186 offset:15488
	ds_load_b128 v[4:7], v186 offset:17424
	s_clause 0x2
	scratch_load_b128 v[42:45], off, off offset:136 th:TH_LOAD_LU
	scratch_load_b128 v[46:49], off, off offset:152 th:TH_LOAD_LU
	scratch_load_b128 v[50:53], off, off offset:168 th:TH_LOAD_LU
	s_wait_loadcnt_dscnt 0x201
	v_mul_f64_e32 v[40:41], v[44:45], v[2:3]
	s_delay_alu instid0(VALU_DEP_1) | instskip(SKIP_1) | instid1(VALU_DEP_1)
	v_fma_f64 v[40:41], v[42:43], v[0:1], v[40:41]
	v_mul_f64_e32 v[0:1], v[44:45], v[0:1]
	v_fma_f64 v[42:43], v[42:43], v[2:3], -v[0:1]
	s_wait_loadcnt_dscnt 0x100
	v_mul_f64_e32 v[0:1], v[48:49], v[6:7]
	s_delay_alu instid0(VALU_DEP_1) | instskip(SKIP_1) | instid1(VALU_DEP_1)
	v_fma_f64 v[44:45], v[46:47], v[4:5], v[0:1]
	v_mul_f64_e32 v[0:1], v[48:49], v[4:5]
	v_fma_f64 v[46:47], v[46:47], v[6:7], -v[0:1]
	ds_load_b128 v[0:3], v186 offset:19360
	s_wait_loadcnt_dscnt 0x0
	v_mul_f64_e32 v[4:5], v[52:53], v[2:3]
	s_delay_alu instid0(VALU_DEP_1) | instskip(SKIP_1) | instid1(VALU_DEP_1)
	v_fma_f64 v[48:49], v[50:51], v[0:1], v[4:5]
	v_mul_f64_e32 v[0:1], v[52:53], v[0:1]
	v_fma_f64 v[50:51], v[50:51], v[2:3], -v[0:1]
	scratch_load_b64 v[2:3], off, off th:TH_LOAD_LU ; 8-byte Folded Reload
	s_wait_loadcnt 0x0
	v_mad_co_u64_u32 v[0:1], null, s6, v2, 0
	s_delay_alu instid0(VALU_DEP_1) | instskip(SKIP_1) | instid1(VALU_DEP_2)
	v_mad_co_u64_u32 v[1:2], null, s7, v2, v[1:2]
	v_mad_co_u64_u32 v[2:3], null, s4, v185, 0
	v_lshlrev_b64_e32 v[0:1], 4, v[0:1]
	s_delay_alu instid0(VALU_DEP_2) | instskip(NEXT) | instid1(VALU_DEP_2)
	v_mad_co_u64_u32 v[3:4], null, s5, v185, v[3:4]
	v_add_co_u32 v4, vcc_lo, s0, v0
	s_wait_alu 0xfffd
	s_delay_alu instid0(VALU_DEP_3) | instskip(NEXT) | instid1(VALU_DEP_3)
	v_add_co_ci_u32_e32 v5, vcc_lo, s1, v1, vcc_lo
	v_lshlrev_b64_e32 v[0:1], 4, v[2:3]
	s_mov_b32 s0, 0x3fdb1246
	s_mov_b32 s1, 0x3f489e7c
	s_wait_alu 0xfffe
	v_mul_f64_e32 v[2:3], s[0:1], v[10:11]
	v_mul_f64_e32 v[6:7], s[0:1], v[18:19]
	v_add_co_u32 v52, vcc_lo, v4, v0
	s_wait_alu 0xfffd
	v_add_co_ci_u32_e32 v53, vcc_lo, v5, v1, vcc_lo
	v_mul_f64_e32 v[0:1], s[0:1], v[8:9]
	v_mul_f64_e32 v[4:5], s[0:1], v[16:17]
	v_add_co_u32 v8, vcc_lo, v52, s2
	s_wait_alu 0xfffd
	v_add_co_ci_u32_e32 v9, vcc_lo, s3, v53, vcc_lo
	v_mul_f64_e32 v[10:11], s[0:1], v[26:27]
	v_mul_f64_e32 v[16:17], s[0:1], v[32:33]
	;; [unrolled: 1-line block ×6, first 2 shown]
	global_store_b128 v[52:53], v[0:3], off
	v_mul_f64_e32 v[0:1], s[0:1], v[12:13]
	v_mul_f64_e32 v[2:3], s[0:1], v[14:15]
	v_add_co_u32 v52, vcc_lo, v8, s2
	s_wait_alu 0xfffd
	v_add_co_ci_u32_e32 v53, vcc_lo, s3, v9, vcc_lo
	v_mul_f64_e32 v[12:13], s[0:1], v[28:29]
	s_delay_alu instid0(VALU_DEP_3)
	v_add_co_u32 v54, vcc_lo, v52, s2
	v_mul_f64_e32 v[14:15], s[0:1], v[30:31]
	s_wait_alu 0xfffd
	v_add_co_ci_u32_e32 v55, vcc_lo, s3, v53, vcc_lo
	v_mul_f64_e32 v[28:29], s[0:1], v[44:45]
	v_mul_f64_e32 v[30:31], s[0:1], v[46:47]
	global_store_b128 v[8:9], v[0:3], off
	v_mul_f64_e32 v[0:1], s[0:1], v[20:21]
	v_mul_f64_e32 v[2:3], s[0:1], v[22:23]
	;; [unrolled: 1-line block ×6, first 2 shown]
	v_add_co_u32 v36, vcc_lo, v54, s2
	s_wait_alu 0xfffd
	v_add_co_ci_u32_e32 v37, vcc_lo, s3, v55, vcc_lo
	global_store_b128 v[52:53], v[4:7], off
	v_add_co_u32 v38, vcc_lo, v36, s2
	s_wait_alu 0xfffd
	v_add_co_ci_u32_e32 v39, vcc_lo, s3, v37, vcc_lo
	s_delay_alu instid0(VALU_DEP_2) | instskip(SKIP_1) | instid1(VALU_DEP_2)
	v_add_co_u32 v4, vcc_lo, v38, s2
	s_wait_alu 0xfffd
	v_add_co_ci_u32_e32 v5, vcc_lo, s3, v39, vcc_lo
	s_delay_alu instid0(VALU_DEP_2) | instskip(SKIP_1) | instid1(VALU_DEP_2)
	;; [unrolled: 4-line block ×3, first 2 shown]
	v_add_co_u32 v40, vcc_lo, v6, s2
	s_wait_alu 0xfffd
	v_add_co_ci_u32_e32 v41, vcc_lo, s3, v7, vcc_lo
	global_store_b128 v[54:55], v[0:3], off
	v_add_co_u32 v0, vcc_lo, v40, s2
	s_wait_alu 0xfffd
	v_add_co_ci_u32_e32 v1, vcc_lo, s3, v41, vcc_lo
	s_delay_alu instid0(VALU_DEP_2) | instskip(SKIP_1) | instid1(VALU_DEP_2)
	v_add_co_u32 v2, vcc_lo, v0, s2
	s_wait_alu 0xfffd
	v_add_co_ci_u32_e32 v3, vcc_lo, s3, v1, vcc_lo
	global_store_b128 v[36:37], v[8:11], off
	global_store_b128 v[38:39], v[12:15], off
	global_store_b128 v[4:5], v[16:19], off
	global_store_b128 v[6:7], v[20:23], off
	global_store_b128 v[40:41], v[24:27], off
	global_store_b128 v[0:1], v[28:31], off
	global_store_b128 v[2:3], v[32:35], off
.LBB0_2:
	s_nop 0
	s_sendmsg sendmsg(MSG_DEALLOC_VGPRS)
	s_endpgm
	.section	.rodata,"a",@progbits
	.p2align	6, 0x0
	.amdhsa_kernel bluestein_single_back_len1331_dim1_dp_op_CI_CI
		.amdhsa_group_segment_fixed_size 42592
		.amdhsa_private_segment_fixed_size 244
		.amdhsa_kernarg_size 104
		.amdhsa_user_sgpr_count 2
		.amdhsa_user_sgpr_dispatch_ptr 0
		.amdhsa_user_sgpr_queue_ptr 0
		.amdhsa_user_sgpr_kernarg_segment_ptr 1
		.amdhsa_user_sgpr_dispatch_id 0
		.amdhsa_user_sgpr_private_segment_size 0
		.amdhsa_wavefront_size32 1
		.amdhsa_uses_dynamic_stack 0
		.amdhsa_enable_private_segment 1
		.amdhsa_system_sgpr_workgroup_id_x 1
		.amdhsa_system_sgpr_workgroup_id_y 0
		.amdhsa_system_sgpr_workgroup_id_z 0
		.amdhsa_system_sgpr_workgroup_info 0
		.amdhsa_system_vgpr_workitem_id 0
		.amdhsa_next_free_vgpr 256
		.amdhsa_next_free_sgpr 40
		.amdhsa_reserve_vcc 1
		.amdhsa_float_round_mode_32 0
		.amdhsa_float_round_mode_16_64 0
		.amdhsa_float_denorm_mode_32 3
		.amdhsa_float_denorm_mode_16_64 3
		.amdhsa_fp16_overflow 0
		.amdhsa_workgroup_processor_mode 1
		.amdhsa_memory_ordered 1
		.amdhsa_forward_progress 0
		.amdhsa_round_robin_scheduling 0
		.amdhsa_exception_fp_ieee_invalid_op 0
		.amdhsa_exception_fp_denorm_src 0
		.amdhsa_exception_fp_ieee_div_zero 0
		.amdhsa_exception_fp_ieee_overflow 0
		.amdhsa_exception_fp_ieee_underflow 0
		.amdhsa_exception_fp_ieee_inexact 0
		.amdhsa_exception_int_div_zero 0
	.end_amdhsa_kernel
	.text
.Lfunc_end0:
	.size	bluestein_single_back_len1331_dim1_dp_op_CI_CI, .Lfunc_end0-bluestein_single_back_len1331_dim1_dp_op_CI_CI
                                        ; -- End function
	.section	.AMDGPU.csdata,"",@progbits
; Kernel info:
; codeLenInByte = 17468
; NumSgprs: 42
; NumVgprs: 256
; ScratchSize: 244
; MemoryBound: 0
; FloatMode: 240
; IeeeMode: 1
; LDSByteSize: 42592 bytes/workgroup (compile time only)
; SGPRBlocks: 5
; VGPRBlocks: 31
; NumSGPRsForWavesPerEU: 42
; NumVGPRsForWavesPerEU: 256
; Occupancy: 5
; WaveLimiterHint : 1
; COMPUTE_PGM_RSRC2:SCRATCH_EN: 1
; COMPUTE_PGM_RSRC2:USER_SGPR: 2
; COMPUTE_PGM_RSRC2:TRAP_HANDLER: 0
; COMPUTE_PGM_RSRC2:TGID_X_EN: 1
; COMPUTE_PGM_RSRC2:TGID_Y_EN: 0
; COMPUTE_PGM_RSRC2:TGID_Z_EN: 0
; COMPUTE_PGM_RSRC2:TIDIG_COMP_CNT: 0
	.text
	.p2alignl 7, 3214868480
	.fill 96, 4, 3214868480
	.type	__hip_cuid_d10bd24a13164cc7,@object ; @__hip_cuid_d10bd24a13164cc7
	.section	.bss,"aw",@nobits
	.globl	__hip_cuid_d10bd24a13164cc7
__hip_cuid_d10bd24a13164cc7:
	.byte	0                               ; 0x0
	.size	__hip_cuid_d10bd24a13164cc7, 1

	.ident	"AMD clang version 19.0.0git (https://github.com/RadeonOpenCompute/llvm-project roc-6.4.0 25133 c7fe45cf4b819c5991fe208aaa96edf142730f1d)"
	.section	".note.GNU-stack","",@progbits
	.addrsig
	.addrsig_sym __hip_cuid_d10bd24a13164cc7
	.amdgpu_metadata
---
amdhsa.kernels:
  - .args:
      - .actual_access:  read_only
        .address_space:  global
        .offset:         0
        .size:           8
        .value_kind:     global_buffer
      - .actual_access:  read_only
        .address_space:  global
        .offset:         8
        .size:           8
        .value_kind:     global_buffer
      - .actual_access:  read_only
        .address_space:  global
        .offset:         16
        .size:           8
        .value_kind:     global_buffer
      - .actual_access:  read_only
        .address_space:  global
        .offset:         24
        .size:           8
        .value_kind:     global_buffer
      - .actual_access:  read_only
        .address_space:  global
        .offset:         32
        .size:           8
        .value_kind:     global_buffer
      - .offset:         40
        .size:           8
        .value_kind:     by_value
      - .address_space:  global
        .offset:         48
        .size:           8
        .value_kind:     global_buffer
      - .address_space:  global
        .offset:         56
        .size:           8
        .value_kind:     global_buffer
      - .address_space:  global
        .offset:         64
        .size:           8
        .value_kind:     global_buffer
      - .address_space:  global
        .offset:         72
        .size:           8
        .value_kind:     global_buffer
      - .offset:         80
        .size:           4
        .value_kind:     by_value
      - .address_space:  global
        .offset:         88
        .size:           8
        .value_kind:     global_buffer
      - .address_space:  global
        .offset:         96
        .size:           8
        .value_kind:     global_buffer
    .group_segment_fixed_size: 42592
    .kernarg_segment_align: 8
    .kernarg_segment_size: 104
    .language:       OpenCL C
    .language_version:
      - 2
      - 0
    .max_flat_workgroup_size: 242
    .name:           bluestein_single_back_len1331_dim1_dp_op_CI_CI
    .private_segment_fixed_size: 244
    .sgpr_count:     42
    .sgpr_spill_count: 0
    .symbol:         bluestein_single_back_len1331_dim1_dp_op_CI_CI.kd
    .uniform_work_group_size: 1
    .uses_dynamic_stack: false
    .vgpr_count:     256
    .vgpr_spill_count: 60
    .wavefront_size: 32
    .workgroup_processor_mode: 1
amdhsa.target:   amdgcn-amd-amdhsa--gfx1201
amdhsa.version:
  - 1
  - 2
...

	.end_amdgpu_metadata
